;; amdgpu-corpus repo=ROCm/rocSPARSE kind=compiled arch=gfx950 opt=O3
	.amdgcn_target "amdgcn-amd-amdhsa--gfx950"
	.amdhsa_code_object_version 6
	.section	.text._ZN9rocsparseL17doti_kernel_part1ILj256ELj2EifffEEvT1_PKT2_PKS1_PKT3_PT4_21rocsparse_index_base_,"axG",@progbits,_ZN9rocsparseL17doti_kernel_part1ILj256ELj2EifffEEvT1_PKT2_PKS1_PKT3_PT4_21rocsparse_index_base_,comdat
	.globl	_ZN9rocsparseL17doti_kernel_part1ILj256ELj2EifffEEvT1_PKT2_PKS1_PKT3_PT4_21rocsparse_index_base_ ; -- Begin function _ZN9rocsparseL17doti_kernel_part1ILj256ELj2EifffEEvT1_PKT2_PKS1_PKT3_PT4_21rocsparse_index_base_
	.p2align	8
	.type	_ZN9rocsparseL17doti_kernel_part1ILj256ELj2EifffEEvT1_PKT2_PKS1_PKT3_PT4_21rocsparse_index_base_,@function
_ZN9rocsparseL17doti_kernel_part1ILj256ELj2EifffEEvT1_PKT2_PKS1_PKT3_PT4_21rocsparse_index_base_: ; @_ZN9rocsparseL17doti_kernel_part1ILj256ELj2EifffEEvT1_PKT2_PKS1_PKT3_PT4_21rocsparse_index_base_
; %bb.0:
	s_load_dword s12, s[0:1], 0x30
	s_load_dword s3, s[0:1], 0x0
	;; [unrolled: 1-line block ×3, first 2 shown]
	s_load_dwordx8 s[4:11], s[0:1], 0x8
	v_mov_b32_e32 v1, 0
	s_waitcnt lgkmcnt(0)
	s_lshl_b32 s0, s12, 9
	s_cmp_ge_i32 s0, s3
	s_mov_b32 s13, s0
	s_cbranch_scc1 .LBB0_3
; %bb.1:
	v_lshl_or_b32 v4, s2, 9, v0
	v_mov_b32_e32 v3, 0
	s_mov_b32 s1, 0
	v_mov_b32_e32 v1, 0
.LBB0_2:                                ; =>This Inner Loop Header: Depth=1
	v_add_u32_e32 v2, s1, v4
	v_lshlrev_b64 v[6:7], 2, v[2:3]
	v_add_u32_e32 v2, 0x100, v2
	v_lshl_add_u64 v[8:9], s[6:7], 0, v[6:7]
	v_lshlrev_b64 v[10:11], 2, v[2:3]
	global_load_dword v2, v[8:9], off
	v_lshl_add_u64 v[8:9], s[6:7], 0, v[10:11]
	global_load_dword v5, v[8:9], off
	v_lshl_add_u64 v[6:7], s[4:5], 0, v[6:7]
	;; [unrolled: 2-line block ×3, first 2 shown]
	global_load_dword v10, v[6:7], off
	s_add_i32 s1, s1, s0
	s_add_i32 s13, s0, s1
	s_cmp_lt_i32 s13, s3
	s_waitcnt vmcnt(3)
	v_subrev_u32_e32 v6, s14, v2
	v_ashrrev_i32_e32 v7, 31, v6
	s_waitcnt vmcnt(2)
	v_subrev_u32_e32 v8, s14, v5
	v_lshl_add_u64 v[6:7], v[6:7], 2, s[8:9]
	v_ashrrev_i32_e32 v9, 31, v8
	global_load_dword v2, v[6:7], off
	v_lshl_add_u64 v[6:7], v[8:9], 2, s[8:9]
	global_load_dword v5, v[6:7], off
	s_waitcnt vmcnt(1)
	v_fmac_f32_e32 v1, v2, v12
	s_waitcnt vmcnt(0)
	v_fmac_f32_e32 v1, v5, v10
	s_cbranch_scc1 .LBB0_2
.LBB0_3:
	v_lshl_or_b32 v2, s2, 8, v0
	v_subrev_u32_e32 v2, s0, v2
	v_add_u32_e32 v2, s13, v2
	v_cmp_gt_i32_e32 vcc, s3, v2
	s_and_saveexec_b64 s[0:1], vcc
	s_cbranch_execz .LBB0_7
; %bb.4:
	s_lshl_b32 s15, s12, 8
	s_mov_b64 s[12:13], 0
.LBB0_5:                                ; =>This Inner Loop Header: Depth=1
	v_ashrrev_i32_e32 v3, 31, v2
	v_lshlrev_b64 v[4:5], 2, v[2:3]
	v_lshl_add_u64 v[6:7], s[6:7], 0, v[4:5]
	global_load_dword v3, v[6:7], off
	v_lshl_add_u64 v[4:5], s[4:5], 0, v[4:5]
	v_add_u32_e32 v2, s15, v2
	v_cmp_le_i32_e32 vcc, s3, v2
	s_or_b64 s[12:13], vcc, s[12:13]
	s_waitcnt vmcnt(0)
	v_subrev_u32_e32 v6, s14, v3
	v_ashrrev_i32_e32 v7, 31, v6
	v_lshl_add_u64 v[6:7], v[6:7], 2, s[8:9]
	global_load_dword v3, v[6:7], off
	global_load_dword v8, v[4:5], off
	s_waitcnt vmcnt(0)
	v_fmac_f32_e32 v1, v3, v8
	s_andn2_b64 exec, exec, s[12:13]
	s_cbranch_execnz .LBB0_5
; %bb.6:
	s_or_b64 exec, exec, s[12:13]
.LBB0_7:
	s_or_b64 exec, exec, s[0:1]
	s_movk_i32 s0, 0x80
	v_lshlrev_b32_e32 v2, 2, v0
	v_cmp_gt_u32_e32 vcc, s0, v0
	ds_write_b32 v2, v1
	s_waitcnt lgkmcnt(0)
	s_barrier
	s_and_saveexec_b64 s[0:1], vcc
	s_cbranch_execz .LBB0_9
; %bb.8:
	ds_read2st64_b32 v[4:5], v2 offset1:2
	s_waitcnt lgkmcnt(0)
	v_add_f32_e32 v1, v4, v5
	ds_write_b32 v2, v1
.LBB0_9:
	s_or_b64 exec, exec, s[0:1]
	v_cmp_gt_u32_e32 vcc, 64, v0
	s_waitcnt lgkmcnt(0)
	s_barrier
	s_and_saveexec_b64 s[0:1], vcc
	s_cbranch_execz .LBB0_11
; %bb.10:
	ds_read2st64_b32 v[4:5], v2 offset1:1
	s_waitcnt lgkmcnt(0)
	v_add_f32_e32 v1, v4, v5
	ds_write_b32 v2, v1
.LBB0_11:
	s_or_b64 exec, exec, s[0:1]
	v_cmp_gt_u32_e32 vcc, 32, v0
	s_waitcnt lgkmcnt(0)
	s_barrier
	s_and_saveexec_b64 s[0:1], vcc
	s_cbranch_execz .LBB0_13
; %bb.12:
	ds_read2_b32 v[4:5], v2 offset1:32
	s_waitcnt lgkmcnt(0)
	v_add_f32_e32 v1, v4, v5
	ds_write_b32 v2, v1
.LBB0_13:
	s_or_b64 exec, exec, s[0:1]
	v_cmp_gt_u32_e32 vcc, 16, v0
	s_waitcnt lgkmcnt(0)
	s_barrier
	s_and_saveexec_b64 s[0:1], vcc
	s_cbranch_execz .LBB0_15
; %bb.14:
	ds_read2_b32 v[4:5], v2 offset1:16
	s_waitcnt lgkmcnt(0)
	v_add_f32_e32 v1, v4, v5
	ds_write_b32 v2, v1
.LBB0_15:
	;; [unrolled: 12-line block ×5, first 2 shown]
	s_or_b64 exec, exec, s[0:1]
	v_cmp_eq_u32_e32 vcc, 0, v0
	s_waitcnt lgkmcnt(0)
	s_barrier
	s_and_saveexec_b64 s[0:1], vcc
	s_cbranch_execz .LBB0_23
; %bb.22:
	v_mov_b32_e32 v2, 0
	ds_read_b64 v[0:1], v2
	s_waitcnt lgkmcnt(0)
	v_add_f32_e32 v0, v0, v1
	ds_write_b32 v2, v0
.LBB0_23:
	s_or_b64 exec, exec, s[0:1]
	s_waitcnt lgkmcnt(0)
	s_barrier
	s_and_saveexec_b64 s[0:1], vcc
	s_cbranch_execz .LBB0_25
; %bb.24:
	v_mov_b32_e32 v0, 0
	ds_read_b32 v1, v0
	s_mov_b32 s3, 0
	s_lshl_b64 s[0:1], s[2:3], 2
	s_add_u32 s0, s10, s0
	s_addc_u32 s1, s11, s1
	s_waitcnt lgkmcnt(0)
	global_store_dword v0, v1, s[0:1]
.LBB0_25:
	s_endpgm
	.section	.rodata,"a",@progbits
	.p2align	6, 0x0
	.amdhsa_kernel _ZN9rocsparseL17doti_kernel_part1ILj256ELj2EifffEEvT1_PKT2_PKS1_PKT3_PT4_21rocsparse_index_base_
		.amdhsa_group_segment_fixed_size 1024
		.amdhsa_private_segment_fixed_size 0
		.amdhsa_kernarg_size 304
		.amdhsa_user_sgpr_count 2
		.amdhsa_user_sgpr_dispatch_ptr 0
		.amdhsa_user_sgpr_queue_ptr 0
		.amdhsa_user_sgpr_kernarg_segment_ptr 1
		.amdhsa_user_sgpr_dispatch_id 0
		.amdhsa_user_sgpr_kernarg_preload_length 0
		.amdhsa_user_sgpr_kernarg_preload_offset 0
		.amdhsa_user_sgpr_private_segment_size 0
		.amdhsa_uses_dynamic_stack 0
		.amdhsa_enable_private_segment 0
		.amdhsa_system_sgpr_workgroup_id_x 1
		.amdhsa_system_sgpr_workgroup_id_y 0
		.amdhsa_system_sgpr_workgroup_id_z 0
		.amdhsa_system_sgpr_workgroup_info 0
		.amdhsa_system_vgpr_workitem_id 0
		.amdhsa_next_free_vgpr 13
		.amdhsa_next_free_sgpr 16
		.amdhsa_accum_offset 16
		.amdhsa_reserve_vcc 1
		.amdhsa_float_round_mode_32 0
		.amdhsa_float_round_mode_16_64 0
		.amdhsa_float_denorm_mode_32 3
		.amdhsa_float_denorm_mode_16_64 3
		.amdhsa_dx10_clamp 1
		.amdhsa_ieee_mode 1
		.amdhsa_fp16_overflow 0
		.amdhsa_tg_split 0
		.amdhsa_exception_fp_ieee_invalid_op 0
		.amdhsa_exception_fp_denorm_src 0
		.amdhsa_exception_fp_ieee_div_zero 0
		.amdhsa_exception_fp_ieee_overflow 0
		.amdhsa_exception_fp_ieee_underflow 0
		.amdhsa_exception_fp_ieee_inexact 0
		.amdhsa_exception_int_div_zero 0
	.end_amdhsa_kernel
	.section	.text._ZN9rocsparseL17doti_kernel_part1ILj256ELj2EifffEEvT1_PKT2_PKS1_PKT3_PT4_21rocsparse_index_base_,"axG",@progbits,_ZN9rocsparseL17doti_kernel_part1ILj256ELj2EifffEEvT1_PKT2_PKS1_PKT3_PT4_21rocsparse_index_base_,comdat
.Lfunc_end0:
	.size	_ZN9rocsparseL17doti_kernel_part1ILj256ELj2EifffEEvT1_PKT2_PKS1_PKT3_PT4_21rocsparse_index_base_, .Lfunc_end0-_ZN9rocsparseL17doti_kernel_part1ILj256ELj2EifffEEvT1_PKT2_PKS1_PKT3_PT4_21rocsparse_index_base_
                                        ; -- End function
	.set _ZN9rocsparseL17doti_kernel_part1ILj256ELj2EifffEEvT1_PKT2_PKS1_PKT3_PT4_21rocsparse_index_base_.num_vgpr, 13
	.set _ZN9rocsparseL17doti_kernel_part1ILj256ELj2EifffEEvT1_PKT2_PKS1_PKT3_PT4_21rocsparse_index_base_.num_agpr, 0
	.set _ZN9rocsparseL17doti_kernel_part1ILj256ELj2EifffEEvT1_PKT2_PKS1_PKT3_PT4_21rocsparse_index_base_.numbered_sgpr, 16
	.set _ZN9rocsparseL17doti_kernel_part1ILj256ELj2EifffEEvT1_PKT2_PKS1_PKT3_PT4_21rocsparse_index_base_.num_named_barrier, 0
	.set _ZN9rocsparseL17doti_kernel_part1ILj256ELj2EifffEEvT1_PKT2_PKS1_PKT3_PT4_21rocsparse_index_base_.private_seg_size, 0
	.set _ZN9rocsparseL17doti_kernel_part1ILj256ELj2EifffEEvT1_PKT2_PKS1_PKT3_PT4_21rocsparse_index_base_.uses_vcc, 1
	.set _ZN9rocsparseL17doti_kernel_part1ILj256ELj2EifffEEvT1_PKT2_PKS1_PKT3_PT4_21rocsparse_index_base_.uses_flat_scratch, 0
	.set _ZN9rocsparseL17doti_kernel_part1ILj256ELj2EifffEEvT1_PKT2_PKS1_PKT3_PT4_21rocsparse_index_base_.has_dyn_sized_stack, 0
	.set _ZN9rocsparseL17doti_kernel_part1ILj256ELj2EifffEEvT1_PKT2_PKS1_PKT3_PT4_21rocsparse_index_base_.has_recursion, 0
	.set _ZN9rocsparseL17doti_kernel_part1ILj256ELj2EifffEEvT1_PKT2_PKS1_PKT3_PT4_21rocsparse_index_base_.has_indirect_call, 0
	.section	.AMDGPU.csdata,"",@progbits
; Kernel info:
; codeLenInByte = 864
; TotalNumSgprs: 22
; NumVgprs: 13
; NumAgprs: 0
; TotalNumVgprs: 13
; ScratchSize: 0
; MemoryBound: 0
; FloatMode: 240
; IeeeMode: 1
; LDSByteSize: 1024 bytes/workgroup (compile time only)
; SGPRBlocks: 2
; VGPRBlocks: 1
; NumSGPRsForWavesPerEU: 22
; NumVGPRsForWavesPerEU: 13
; AccumOffset: 16
; Occupancy: 8
; WaveLimiterHint : 1
; COMPUTE_PGM_RSRC2:SCRATCH_EN: 0
; COMPUTE_PGM_RSRC2:USER_SGPR: 2
; COMPUTE_PGM_RSRC2:TRAP_HANDLER: 0
; COMPUTE_PGM_RSRC2:TGID_X_EN: 1
; COMPUTE_PGM_RSRC2:TGID_Y_EN: 0
; COMPUTE_PGM_RSRC2:TGID_Z_EN: 0
; COMPUTE_PGM_RSRC2:TIDIG_COMP_CNT: 0
; COMPUTE_PGM_RSRC3_GFX90A:ACCUM_OFFSET: 3
; COMPUTE_PGM_RSRC3_GFX90A:TG_SPLIT: 0
	.section	.text._ZN9rocsparseL17doti_kernel_part2ILj256EfEEvPT0_S2_,"axG",@progbits,_ZN9rocsparseL17doti_kernel_part2ILj256EfEEvPT0_S2_,comdat
	.globl	_ZN9rocsparseL17doti_kernel_part2ILj256EfEEvPT0_S2_ ; -- Begin function _ZN9rocsparseL17doti_kernel_part2ILj256EfEEvPT0_S2_
	.p2align	8
	.type	_ZN9rocsparseL17doti_kernel_part2ILj256EfEEvPT0_S2_,@function
_ZN9rocsparseL17doti_kernel_part2ILj256EfEEvPT0_S2_: ; @_ZN9rocsparseL17doti_kernel_part2ILj256EfEEvPT0_S2_
; %bb.0:
	s_load_dwordx4 s[0:3], s[0:1], 0x0
	v_lshlrev_b32_e32 v1, 2, v0
	s_movk_i32 s4, 0x80
	v_cmp_gt_u32_e32 vcc, s4, v0
	s_waitcnt lgkmcnt(0)
	global_load_dword v2, v1, s[0:1]
	s_waitcnt vmcnt(0)
	ds_write_b32 v1, v2
	s_waitcnt lgkmcnt(0)
	s_barrier
	s_and_saveexec_b64 s[4:5], vcc
	s_cbranch_execz .LBB1_2
; %bb.1:
	ds_read2st64_b32 v[2:3], v1 offset1:2
	s_waitcnt lgkmcnt(0)
	v_add_f32_e32 v2, v2, v3
	ds_write_b32 v1, v2
.LBB1_2:
	s_or_b64 exec, exec, s[4:5]
	v_cmp_gt_u32_e32 vcc, 64, v0
	s_waitcnt lgkmcnt(0)
	s_barrier
	s_and_saveexec_b64 s[4:5], vcc
	s_cbranch_execz .LBB1_4
; %bb.3:
	ds_read2st64_b32 v[2:3], v1 offset1:1
	s_waitcnt lgkmcnt(0)
	v_add_f32_e32 v2, v2, v3
	ds_write_b32 v1, v2
.LBB1_4:
	s_or_b64 exec, exec, s[4:5]
	v_cmp_gt_u32_e32 vcc, 32, v0
	s_waitcnt lgkmcnt(0)
	s_barrier
	s_and_saveexec_b64 s[4:5], vcc
	s_cbranch_execz .LBB1_6
; %bb.5:
	ds_read2_b32 v[2:3], v1 offset1:32
	s_waitcnt lgkmcnt(0)
	v_add_f32_e32 v2, v2, v3
	ds_write_b32 v1, v2
.LBB1_6:
	s_or_b64 exec, exec, s[4:5]
	v_cmp_gt_u32_e32 vcc, 16, v0
	s_waitcnt lgkmcnt(0)
	s_barrier
	s_and_saveexec_b64 s[4:5], vcc
	s_cbranch_execz .LBB1_8
; %bb.7:
	ds_read2_b32 v[2:3], v1 offset1:16
	s_waitcnt lgkmcnt(0)
	v_add_f32_e32 v2, v2, v3
	ds_write_b32 v1, v2
.LBB1_8:
	;; [unrolled: 12-line block ×5, first 2 shown]
	s_or_b64 exec, exec, s[4:5]
	v_cmp_eq_u32_e32 vcc, 0, v0
	s_waitcnt lgkmcnt(0)
	s_barrier
	s_and_saveexec_b64 s[4:5], vcc
	s_cbranch_execz .LBB1_16
; %bb.15:
	v_mov_b32_e32 v2, 0
	ds_read_b64 v[0:1], v2
	s_waitcnt lgkmcnt(0)
	v_add_f32_e32 v0, v0, v1
	ds_write_b32 v2, v0
.LBB1_16:
	s_or_b64 exec, exec, s[4:5]
	s_waitcnt lgkmcnt(0)
	s_barrier
	s_and_saveexec_b64 s[4:5], vcc
	s_cbranch_execz .LBB1_18
; %bb.17:
	v_mov_b32_e32 v0, 0
	ds_read_b32 v1, v0
	s_cmp_eq_u64 s[2:3], 0
	s_cselect_b32 s1, s1, s3
	s_cselect_b32 s0, s0, s2
	s_waitcnt lgkmcnt(0)
	global_store_dword v0, v1, s[0:1]
.LBB1_18:
	s_endpgm
	.section	.rodata,"a",@progbits
	.p2align	6, 0x0
	.amdhsa_kernel _ZN9rocsparseL17doti_kernel_part2ILj256EfEEvPT0_S2_
		.amdhsa_group_segment_fixed_size 1024
		.amdhsa_private_segment_fixed_size 0
		.amdhsa_kernarg_size 16
		.amdhsa_user_sgpr_count 2
		.amdhsa_user_sgpr_dispatch_ptr 0
		.amdhsa_user_sgpr_queue_ptr 0
		.amdhsa_user_sgpr_kernarg_segment_ptr 1
		.amdhsa_user_sgpr_dispatch_id 0
		.amdhsa_user_sgpr_kernarg_preload_length 0
		.amdhsa_user_sgpr_kernarg_preload_offset 0
		.amdhsa_user_sgpr_private_segment_size 0
		.amdhsa_uses_dynamic_stack 0
		.amdhsa_enable_private_segment 0
		.amdhsa_system_sgpr_workgroup_id_x 1
		.amdhsa_system_sgpr_workgroup_id_y 0
		.amdhsa_system_sgpr_workgroup_id_z 0
		.amdhsa_system_sgpr_workgroup_info 0
		.amdhsa_system_vgpr_workitem_id 0
		.amdhsa_next_free_vgpr 4
		.amdhsa_next_free_sgpr 6
		.amdhsa_accum_offset 4
		.amdhsa_reserve_vcc 1
		.amdhsa_float_round_mode_32 0
		.amdhsa_float_round_mode_16_64 0
		.amdhsa_float_denorm_mode_32 3
		.amdhsa_float_denorm_mode_16_64 3
		.amdhsa_dx10_clamp 1
		.amdhsa_ieee_mode 1
		.amdhsa_fp16_overflow 0
		.amdhsa_tg_split 0
		.amdhsa_exception_fp_ieee_invalid_op 0
		.amdhsa_exception_fp_denorm_src 0
		.amdhsa_exception_fp_ieee_div_zero 0
		.amdhsa_exception_fp_ieee_overflow 0
		.amdhsa_exception_fp_ieee_underflow 0
		.amdhsa_exception_fp_ieee_inexact 0
		.amdhsa_exception_int_div_zero 0
	.end_amdhsa_kernel
	.section	.text._ZN9rocsparseL17doti_kernel_part2ILj256EfEEvPT0_S2_,"axG",@progbits,_ZN9rocsparseL17doti_kernel_part2ILj256EfEEvPT0_S2_,comdat
.Lfunc_end1:
	.size	_ZN9rocsparseL17doti_kernel_part2ILj256EfEEvPT0_S2_, .Lfunc_end1-_ZN9rocsparseL17doti_kernel_part2ILj256EfEEvPT0_S2_
                                        ; -- End function
	.set _ZN9rocsparseL17doti_kernel_part2ILj256EfEEvPT0_S2_.num_vgpr, 4
	.set _ZN9rocsparseL17doti_kernel_part2ILj256EfEEvPT0_S2_.num_agpr, 0
	.set _ZN9rocsparseL17doti_kernel_part2ILj256EfEEvPT0_S2_.numbered_sgpr, 6
	.set _ZN9rocsparseL17doti_kernel_part2ILj256EfEEvPT0_S2_.num_named_barrier, 0
	.set _ZN9rocsparseL17doti_kernel_part2ILj256EfEEvPT0_S2_.private_seg_size, 0
	.set _ZN9rocsparseL17doti_kernel_part2ILj256EfEEvPT0_S2_.uses_vcc, 1
	.set _ZN9rocsparseL17doti_kernel_part2ILj256EfEEvPT0_S2_.uses_flat_scratch, 0
	.set _ZN9rocsparseL17doti_kernel_part2ILj256EfEEvPT0_S2_.has_dyn_sized_stack, 0
	.set _ZN9rocsparseL17doti_kernel_part2ILj256EfEEvPT0_S2_.has_recursion, 0
	.set _ZN9rocsparseL17doti_kernel_part2ILj256EfEEvPT0_S2_.has_indirect_call, 0
	.section	.AMDGPU.csdata,"",@progbits
; Kernel info:
; codeLenInByte = 484
; TotalNumSgprs: 12
; NumVgprs: 4
; NumAgprs: 0
; TotalNumVgprs: 4
; ScratchSize: 0
; MemoryBound: 0
; FloatMode: 240
; IeeeMode: 1
; LDSByteSize: 1024 bytes/workgroup (compile time only)
; SGPRBlocks: 1
; VGPRBlocks: 0
; NumSGPRsForWavesPerEU: 12
; NumVGPRsForWavesPerEU: 4
; AccumOffset: 4
; Occupancy: 8
; WaveLimiterHint : 0
; COMPUTE_PGM_RSRC2:SCRATCH_EN: 0
; COMPUTE_PGM_RSRC2:USER_SGPR: 2
; COMPUTE_PGM_RSRC2:TRAP_HANDLER: 0
; COMPUTE_PGM_RSRC2:TGID_X_EN: 1
; COMPUTE_PGM_RSRC2:TGID_Y_EN: 0
; COMPUTE_PGM_RSRC2:TGID_Z_EN: 0
; COMPUTE_PGM_RSRC2:TIDIG_COMP_CNT: 0
; COMPUTE_PGM_RSRC3_GFX90A:ACCUM_OFFSET: 0
; COMPUTE_PGM_RSRC3_GFX90A:TG_SPLIT: 0
	.section	.text._ZN9rocsparseL17doti_kernel_part1ILj256ELj2ElfffEEvT1_PKT2_PKS1_PKT3_PT4_21rocsparse_index_base_,"axG",@progbits,_ZN9rocsparseL17doti_kernel_part1ILj256ELj2ElfffEEvT1_PKT2_PKS1_PKT3_PT4_21rocsparse_index_base_,comdat
	.globl	_ZN9rocsparseL17doti_kernel_part1ILj256ELj2ElfffEEvT1_PKT2_PKS1_PKT3_PT4_21rocsparse_index_base_ ; -- Begin function _ZN9rocsparseL17doti_kernel_part1ILj256ELj2ElfffEEvT1_PKT2_PKS1_PKT3_PT4_21rocsparse_index_base_
	.p2align	8
	.type	_ZN9rocsparseL17doti_kernel_part1ILj256ELj2ElfffEEvT1_PKT2_PKS1_PKT3_PT4_21rocsparse_index_base_,@function
_ZN9rocsparseL17doti_kernel_part1ILj256ELj2ElfffEEvT1_PKT2_PKS1_PKT3_PT4_21rocsparse_index_base_: ; @_ZN9rocsparseL17doti_kernel_part1ILj256ELj2ElfffEEvT1_PKT2_PKS1_PKT3_PT4_21rocsparse_index_base_
; %bb.0:
	s_load_dwordx8 s[4:11], s[0:1], 0x0
	s_load_dwordx2 s[12:13], s[0:1], 0x20
	s_load_dword s3, s[0:1], 0x28
	s_load_dword s20, s[0:1], 0x30
	s_mov_b32 s1, 0
	s_lshl_b32 s14, s2, 8
	v_or_b32_e32 v1, s14, v0
	v_mov_b32_e32 v3, 0
	s_waitcnt lgkmcnt(0)
	s_lshl_b32 s0, s20, 9
	v_mov_b64_e32 v[4:5], s[0:1]
	v_cmp_le_i64_e32 vcc, s[4:5], v[4:5]
	s_cbranch_vccnz .LBB2_3
; %bb.1:
	v_add_u32_e32 v2, s14, v1
	v_mov_b32_e32 v3, 0
	v_lshl_add_u64 v[4:5], v[2:3], 2, s[6:7]
	s_mov_b64 s[14:15], 0x400
	v_lshl_add_u64 v[4:5], v[4:5], 0, s[14:15]
	v_lshl_add_u64 v[6:7], v[2:3], 3, s[8:9]
	s_mov_b64 s[14:15], 0x800
	s_lshl_b64 s[16:17], s[0:1], 2
	v_lshl_add_u64 v[6:7], v[6:7], 0, s[14:15]
	s_lshl_b64 s[18:19], s[0:1], 3
	v_mov_b64_e32 v[8:9], s[4:5]
	s_mov_b64 s[14:15], s[0:1]
.LBB2_2:                                ; =>This Inner Loop Header: Depth=1
	global_load_dwordx2 v[10:11], v[6:7], off offset:-2048
	global_load_dwordx2 v[12:13], v[6:7], off
	global_load_dword v2, v[4:5], off offset:-1024
	global_load_dword v14, v[4:5], off
	s_add_u32 s14, s14, s0
	s_addc_u32 s15, s15, 0
	v_lshl_add_u64 v[4:5], v[4:5], 0, s[16:17]
	v_lshl_add_u64 v[6:7], v[6:7], 0, s[18:19]
	s_waitcnt vmcnt(3)
	v_subrev_co_u32_e32 v10, vcc, s3, v10
	s_nop 1
	v_subbrev_co_u32_e32 v11, vcc, 0, v11, vcc
	s_waitcnt vmcnt(2)
	v_subrev_co_u32_e32 v12, vcc, s3, v12
	v_lshl_add_u64 v[10:11], v[10:11], 2, s[10:11]
	s_nop 0
	v_subbrev_co_u32_e32 v13, vcc, 0, v13, vcc
	v_lshl_add_u64 v[12:13], v[12:13], 2, s[10:11]
	global_load_dword v15, v[10:11], off
	global_load_dword v16, v[12:13], off
	v_cmp_lt_i64_e32 vcc, s[14:15], v[8:9]
	s_and_b64 vcc, exec, vcc
	s_waitcnt vmcnt(1)
	v_fmac_f32_e32 v3, v15, v2
	s_waitcnt vmcnt(0)
	v_fmac_f32_e32 v3, v16, v14
	s_cbranch_vccnz .LBB2_2
	s_branch .LBB2_4
.LBB2_3:
	s_mov_b64 s[14:15], s[0:1]
.LBB2_4:
	v_subrev_co_u32_e32 v4, vcc, s0, v1
	s_nop 1
	v_subb_co_u32_e64 v5, s[0:1], 0, 0, vcc
	v_lshl_add_u64 v[4:5], v[4:5], 0, s[14:15]
	v_cmp_gt_i64_e32 vcc, s[4:5], v[4:5]
	s_and_saveexec_b64 s[0:1], vcc
	s_cbranch_execz .LBB2_8
; %bb.5:
	s_mov_b32 s15, 0
	s_lshl_b32 s14, s20, 8
	v_lshl_add_u64 v[6:7], v[4:5], 2, s[6:7]
	s_lshl_b64 s[6:7], s[14:15], 2
	v_lshl_add_u64 v[8:9], v[4:5], 3, s[8:9]
	s_lshl_b64 s[16:17], s[14:15], 3
	s_mov_b64 s[8:9], 0
.LBB2_6:                                ; =>This Inner Loop Header: Depth=1
	global_load_dwordx2 v[10:11], v[8:9], off
	global_load_dword v1, v[6:7], off
	v_lshl_add_u64 v[4:5], v[4:5], 0, s[14:15]
	v_lshl_add_u64 v[6:7], v[6:7], 0, s[6:7]
	;; [unrolled: 1-line block ×3, first 2 shown]
	s_waitcnt vmcnt(1)
	v_subrev_co_u32_e32 v10, vcc, s3, v10
	s_nop 1
	v_subbrev_co_u32_e32 v11, vcc, 0, v11, vcc
	v_lshl_add_u64 v[10:11], v[10:11], 2, s[10:11]
	global_load_dword v2, v[10:11], off
	v_cmp_le_i64_e32 vcc, s[4:5], v[4:5]
	s_or_b64 s[8:9], vcc, s[8:9]
	s_waitcnt vmcnt(0)
	v_fmac_f32_e32 v3, v2, v1
	s_andn2_b64 exec, exec, s[8:9]
	s_cbranch_execnz .LBB2_6
; %bb.7:
	s_or_b64 exec, exec, s[8:9]
.LBB2_8:
	s_or_b64 exec, exec, s[0:1]
	s_movk_i32 s0, 0x80
	v_lshlrev_b32_e32 v1, 2, v0
	v_cmp_gt_u32_e32 vcc, s0, v0
	ds_write_b32 v1, v3
	s_waitcnt lgkmcnt(0)
	s_barrier
	s_and_saveexec_b64 s[0:1], vcc
	s_cbranch_execz .LBB2_10
; %bb.9:
	ds_read2st64_b32 v[2:3], v1 offset1:2
	s_waitcnt lgkmcnt(0)
	v_add_f32_e32 v2, v2, v3
	ds_write_b32 v1, v2
.LBB2_10:
	s_or_b64 exec, exec, s[0:1]
	v_cmp_gt_u32_e32 vcc, 64, v0
	s_waitcnt lgkmcnt(0)
	s_barrier
	s_and_saveexec_b64 s[0:1], vcc
	s_cbranch_execz .LBB2_12
; %bb.11:
	ds_read2st64_b32 v[2:3], v1 offset1:1
	s_waitcnt lgkmcnt(0)
	v_add_f32_e32 v2, v2, v3
	ds_write_b32 v1, v2
.LBB2_12:
	s_or_b64 exec, exec, s[0:1]
	v_cmp_gt_u32_e32 vcc, 32, v0
	s_waitcnt lgkmcnt(0)
	s_barrier
	s_and_saveexec_b64 s[0:1], vcc
	s_cbranch_execz .LBB2_14
; %bb.13:
	ds_read2_b32 v[2:3], v1 offset1:32
	s_waitcnt lgkmcnt(0)
	v_add_f32_e32 v2, v2, v3
	ds_write_b32 v1, v2
.LBB2_14:
	s_or_b64 exec, exec, s[0:1]
	v_cmp_gt_u32_e32 vcc, 16, v0
	s_waitcnt lgkmcnt(0)
	s_barrier
	s_and_saveexec_b64 s[0:1], vcc
	s_cbranch_execz .LBB2_16
; %bb.15:
	ds_read2_b32 v[2:3], v1 offset1:16
	s_waitcnt lgkmcnt(0)
	v_add_f32_e32 v2, v2, v3
	ds_write_b32 v1, v2
.LBB2_16:
	;; [unrolled: 12-line block ×5, first 2 shown]
	s_or_b64 exec, exec, s[0:1]
	v_cmp_eq_u32_e32 vcc, 0, v0
	s_waitcnt lgkmcnt(0)
	s_barrier
	s_and_saveexec_b64 s[0:1], vcc
	s_cbranch_execz .LBB2_24
; %bb.23:
	v_mov_b32_e32 v2, 0
	ds_read_b64 v[0:1], v2
	s_waitcnt lgkmcnt(0)
	v_add_f32_e32 v0, v0, v1
	ds_write_b32 v2, v0
.LBB2_24:
	s_or_b64 exec, exec, s[0:1]
	s_waitcnt lgkmcnt(0)
	s_barrier
	s_and_saveexec_b64 s[0:1], vcc
	s_cbranch_execz .LBB2_26
; %bb.25:
	v_mov_b32_e32 v0, 0
	ds_read_b32 v1, v0
	s_mov_b32 s3, 0
	s_lshl_b64 s[0:1], s[2:3], 2
	s_add_u32 s0, s12, s0
	s_addc_u32 s1, s13, s1
	s_waitcnt lgkmcnt(0)
	global_store_dword v0, v1, s[0:1]
.LBB2_26:
	s_endpgm
	.section	.rodata,"a",@progbits
	.p2align	6, 0x0
	.amdhsa_kernel _ZN9rocsparseL17doti_kernel_part1ILj256ELj2ElfffEEvT1_PKT2_PKS1_PKT3_PT4_21rocsparse_index_base_
		.amdhsa_group_segment_fixed_size 1024
		.amdhsa_private_segment_fixed_size 0
		.amdhsa_kernarg_size 304
		.amdhsa_user_sgpr_count 2
		.amdhsa_user_sgpr_dispatch_ptr 0
		.amdhsa_user_sgpr_queue_ptr 0
		.amdhsa_user_sgpr_kernarg_segment_ptr 1
		.amdhsa_user_sgpr_dispatch_id 0
		.amdhsa_user_sgpr_kernarg_preload_length 0
		.amdhsa_user_sgpr_kernarg_preload_offset 0
		.amdhsa_user_sgpr_private_segment_size 0
		.amdhsa_uses_dynamic_stack 0
		.amdhsa_enable_private_segment 0
		.amdhsa_system_sgpr_workgroup_id_x 1
		.amdhsa_system_sgpr_workgroup_id_y 0
		.amdhsa_system_sgpr_workgroup_id_z 0
		.amdhsa_system_sgpr_workgroup_info 0
		.amdhsa_system_vgpr_workitem_id 0
		.amdhsa_next_free_vgpr 17
		.amdhsa_next_free_sgpr 21
		.amdhsa_accum_offset 20
		.amdhsa_reserve_vcc 1
		.amdhsa_float_round_mode_32 0
		.amdhsa_float_round_mode_16_64 0
		.amdhsa_float_denorm_mode_32 3
		.amdhsa_float_denorm_mode_16_64 3
		.amdhsa_dx10_clamp 1
		.amdhsa_ieee_mode 1
		.amdhsa_fp16_overflow 0
		.amdhsa_tg_split 0
		.amdhsa_exception_fp_ieee_invalid_op 0
		.amdhsa_exception_fp_denorm_src 0
		.amdhsa_exception_fp_ieee_div_zero 0
		.amdhsa_exception_fp_ieee_overflow 0
		.amdhsa_exception_fp_ieee_underflow 0
		.amdhsa_exception_fp_ieee_inexact 0
		.amdhsa_exception_int_div_zero 0
	.end_amdhsa_kernel
	.section	.text._ZN9rocsparseL17doti_kernel_part1ILj256ELj2ElfffEEvT1_PKT2_PKS1_PKT3_PT4_21rocsparse_index_base_,"axG",@progbits,_ZN9rocsparseL17doti_kernel_part1ILj256ELj2ElfffEEvT1_PKT2_PKS1_PKT3_PT4_21rocsparse_index_base_,comdat
.Lfunc_end2:
	.size	_ZN9rocsparseL17doti_kernel_part1ILj256ELj2ElfffEEvT1_PKT2_PKS1_PKT3_PT4_21rocsparse_index_base_, .Lfunc_end2-_ZN9rocsparseL17doti_kernel_part1ILj256ELj2ElfffEEvT1_PKT2_PKS1_PKT3_PT4_21rocsparse_index_base_
                                        ; -- End function
	.set _ZN9rocsparseL17doti_kernel_part1ILj256ELj2ElfffEEvT1_PKT2_PKS1_PKT3_PT4_21rocsparse_index_base_.num_vgpr, 17
	.set _ZN9rocsparseL17doti_kernel_part1ILj256ELj2ElfffEEvT1_PKT2_PKS1_PKT3_PT4_21rocsparse_index_base_.num_agpr, 0
	.set _ZN9rocsparseL17doti_kernel_part1ILj256ELj2ElfffEEvT1_PKT2_PKS1_PKT3_PT4_21rocsparse_index_base_.numbered_sgpr, 21
	.set _ZN9rocsparseL17doti_kernel_part1ILj256ELj2ElfffEEvT1_PKT2_PKS1_PKT3_PT4_21rocsparse_index_base_.num_named_barrier, 0
	.set _ZN9rocsparseL17doti_kernel_part1ILj256ELj2ElfffEEvT1_PKT2_PKS1_PKT3_PT4_21rocsparse_index_base_.private_seg_size, 0
	.set _ZN9rocsparseL17doti_kernel_part1ILj256ELj2ElfffEEvT1_PKT2_PKS1_PKT3_PT4_21rocsparse_index_base_.uses_vcc, 1
	.set _ZN9rocsparseL17doti_kernel_part1ILj256ELj2ElfffEEvT1_PKT2_PKS1_PKT3_PT4_21rocsparse_index_base_.uses_flat_scratch, 0
	.set _ZN9rocsparseL17doti_kernel_part1ILj256ELj2ElfffEEvT1_PKT2_PKS1_PKT3_PT4_21rocsparse_index_base_.has_dyn_sized_stack, 0
	.set _ZN9rocsparseL17doti_kernel_part1ILj256ELj2ElfffEEvT1_PKT2_PKS1_PKT3_PT4_21rocsparse_index_base_.has_recursion, 0
	.set _ZN9rocsparseL17doti_kernel_part1ILj256ELj2ElfffEEvT1_PKT2_PKS1_PKT3_PT4_21rocsparse_index_base_.has_indirect_call, 0
	.section	.AMDGPU.csdata,"",@progbits
; Kernel info:
; codeLenInByte = 936
; TotalNumSgprs: 27
; NumVgprs: 17
; NumAgprs: 0
; TotalNumVgprs: 17
; ScratchSize: 0
; MemoryBound: 0
; FloatMode: 240
; IeeeMode: 1
; LDSByteSize: 1024 bytes/workgroup (compile time only)
; SGPRBlocks: 3
; VGPRBlocks: 2
; NumSGPRsForWavesPerEU: 27
; NumVGPRsForWavesPerEU: 17
; AccumOffset: 20
; Occupancy: 8
; WaveLimiterHint : 1
; COMPUTE_PGM_RSRC2:SCRATCH_EN: 0
; COMPUTE_PGM_RSRC2:USER_SGPR: 2
; COMPUTE_PGM_RSRC2:TRAP_HANDLER: 0
; COMPUTE_PGM_RSRC2:TGID_X_EN: 1
; COMPUTE_PGM_RSRC2:TGID_Y_EN: 0
; COMPUTE_PGM_RSRC2:TGID_Z_EN: 0
; COMPUTE_PGM_RSRC2:TIDIG_COMP_CNT: 0
; COMPUTE_PGM_RSRC3_GFX90A:ACCUM_OFFSET: 4
; COMPUTE_PGM_RSRC3_GFX90A:TG_SPLIT: 0
	.section	.text._ZN9rocsparseL17doti_kernel_part1ILj256ELj2EidddEEvT1_PKT2_PKS1_PKT3_PT4_21rocsparse_index_base_,"axG",@progbits,_ZN9rocsparseL17doti_kernel_part1ILj256ELj2EidddEEvT1_PKT2_PKS1_PKT3_PT4_21rocsparse_index_base_,comdat
	.globl	_ZN9rocsparseL17doti_kernel_part1ILj256ELj2EidddEEvT1_PKT2_PKS1_PKT3_PT4_21rocsparse_index_base_ ; -- Begin function _ZN9rocsparseL17doti_kernel_part1ILj256ELj2EidddEEvT1_PKT2_PKS1_PKT3_PT4_21rocsparse_index_base_
	.p2align	8
	.type	_ZN9rocsparseL17doti_kernel_part1ILj256ELj2EidddEEvT1_PKT2_PKS1_PKT3_PT4_21rocsparse_index_base_,@function
_ZN9rocsparseL17doti_kernel_part1ILj256ELj2EidddEEvT1_PKT2_PKS1_PKT3_PT4_21rocsparse_index_base_: ; @_ZN9rocsparseL17doti_kernel_part1ILj256ELj2EidddEEvT1_PKT2_PKS1_PKT3_PT4_21rocsparse_index_base_
; %bb.0:
	s_load_dword s12, s[0:1], 0x30
	s_load_dword s3, s[0:1], 0x28
	;; [unrolled: 1-line block ×3, first 2 shown]
	s_load_dwordx8 s[4:11], s[0:1], 0x8
	v_mov_b64_e32 v[2:3], 0
	s_waitcnt lgkmcnt(0)
	s_lshl_b32 s0, s12, 9
	s_mov_b32 s13, s0
	s_cmp_ge_i32 s0, s14
	s_cbranch_scc1 .LBB3_3
; %bb.1:
	v_lshl_or_b32 v1, s2, 9, v0
	v_mov_b64_e32 v[2:3], 0
	s_mov_b32 s1, 0
	v_mov_b32_e32 v5, 0
.LBB3_2:                                ; =>This Inner Loop Header: Depth=1
	v_add_u32_e32 v4, s1, v1
	v_lshl_add_u64 v[6:7], v[4:5], 2, s[6:7]
	v_lshl_add_u64 v[8:9], v[4:5], 3, s[4:5]
	v_add_u32_e32 v4, 0x100, v4
	global_load_dword v12, v[6:7], off
	v_lshl_add_u64 v[6:7], v[4:5], 2, s[6:7]
	global_load_dword v13, v[6:7], off
	global_load_dwordx2 v[10:11], v[8:9], off
	v_lshl_add_u64 v[6:7], v[4:5], 3, s[4:5]
	global_load_dwordx2 v[6:7], v[6:7], off
	s_add_i32 s1, s1, s0
	s_add_i32 s13, s0, s1
	s_cmp_lt_i32 s13, s14
	s_waitcnt vmcnt(3)
	v_subrev_u32_e32 v8, s3, v12
	v_ashrrev_i32_e32 v9, 31, v8
	s_waitcnt vmcnt(2)
	v_subrev_u32_e32 v12, s3, v13
	v_lshl_add_u64 v[8:9], v[8:9], 3, s[8:9]
	v_ashrrev_i32_e32 v13, 31, v12
	global_load_dwordx2 v[8:9], v[8:9], off
	v_lshl_add_u64 v[12:13], v[12:13], 3, s[8:9]
	global_load_dwordx2 v[12:13], v[12:13], off
	s_waitcnt vmcnt(1)
	v_fmac_f64_e32 v[2:3], v[8:9], v[10:11]
	s_waitcnt vmcnt(0)
	v_fmac_f64_e32 v[2:3], v[12:13], v[6:7]
	s_cbranch_scc1 .LBB3_2
.LBB3_3:
	v_lshl_or_b32 v1, s2, 8, v0
	v_subrev_u32_e32 v1, s0, v1
	v_add_u32_e32 v4, s13, v1
	v_cmp_gt_i32_e32 vcc, s14, v4
	s_and_saveexec_b64 s[0:1], vcc
	s_cbranch_execz .LBB3_7
; %bb.4:
	s_lshl_b32 s15, s12, 8
	s_mov_b64 s[12:13], 0
.LBB3_5:                                ; =>This Inner Loop Header: Depth=1
	v_ashrrev_i32_e32 v5, 31, v4
	v_lshl_add_u64 v[6:7], v[4:5], 2, s[6:7]
	global_load_dword v1, v[6:7], off
	v_lshl_add_u64 v[6:7], v[4:5], 3, s[4:5]
	v_add_u32_e32 v4, s15, v4
	v_cmp_le_i32_e32 vcc, s14, v4
	s_or_b64 s[12:13], vcc, s[12:13]
	s_waitcnt vmcnt(0)
	v_subrev_u32_e32 v8, s3, v1
	v_ashrrev_i32_e32 v9, 31, v8
	v_lshl_add_u64 v[8:9], v[8:9], 3, s[8:9]
	global_load_dwordx2 v[10:11], v[8:9], off
	global_load_dwordx2 v[12:13], v[6:7], off
	s_waitcnt vmcnt(0)
	v_fmac_f64_e32 v[2:3], v[10:11], v[12:13]
	s_andn2_b64 exec, exec, s[12:13]
	s_cbranch_execnz .LBB3_5
; %bb.6:
	s_or_b64 exec, exec, s[12:13]
.LBB3_7:
	s_or_b64 exec, exec, s[0:1]
	s_movk_i32 s0, 0x80
	v_lshlrev_b32_e32 v1, 3, v0
	v_cmp_gt_u32_e32 vcc, s0, v0
	ds_write_b64 v1, v[2:3]
	s_waitcnt lgkmcnt(0)
	s_barrier
	s_and_saveexec_b64 s[0:1], vcc
	s_cbranch_execz .LBB3_9
; %bb.8:
	ds_read2st64_b64 v[2:5], v1 offset1:2
	s_waitcnt lgkmcnt(0)
	v_add_f64 v[2:3], v[2:3], v[4:5]
	ds_write_b64 v1, v[2:3]
.LBB3_9:
	s_or_b64 exec, exec, s[0:1]
	v_cmp_gt_u32_e32 vcc, 64, v0
	s_waitcnt lgkmcnt(0)
	s_barrier
	s_and_saveexec_b64 s[0:1], vcc
	s_cbranch_execz .LBB3_11
; %bb.10:
	ds_read2st64_b64 v[2:5], v1 offset1:1
	s_waitcnt lgkmcnt(0)
	v_add_f64 v[2:3], v[2:3], v[4:5]
	ds_write_b64 v1, v[2:3]
.LBB3_11:
	s_or_b64 exec, exec, s[0:1]
	v_cmp_gt_u32_e32 vcc, 32, v0
	s_waitcnt lgkmcnt(0)
	s_barrier
	s_and_saveexec_b64 s[0:1], vcc
	s_cbranch_execz .LBB3_13
; %bb.12:
	ds_read2_b64 v[2:5], v1 offset1:32
	s_waitcnt lgkmcnt(0)
	v_add_f64 v[2:3], v[2:3], v[4:5]
	ds_write_b64 v1, v[2:3]
.LBB3_13:
	s_or_b64 exec, exec, s[0:1]
	v_cmp_gt_u32_e32 vcc, 16, v0
	s_waitcnt lgkmcnt(0)
	s_barrier
	s_and_saveexec_b64 s[0:1], vcc
	s_cbranch_execz .LBB3_15
; %bb.14:
	ds_read2_b64 v[2:5], v1 offset1:16
	s_waitcnt lgkmcnt(0)
	v_add_f64 v[2:3], v[2:3], v[4:5]
	ds_write_b64 v1, v[2:3]
.LBB3_15:
	;; [unrolled: 12-line block ×5, first 2 shown]
	s_or_b64 exec, exec, s[0:1]
	v_cmp_eq_u32_e32 vcc, 0, v0
	s_waitcnt lgkmcnt(0)
	s_barrier
	s_and_saveexec_b64 s[0:1], vcc
	s_cbranch_execz .LBB3_23
; %bb.22:
	v_mov_b32_e32 v4, 0
	ds_read_b128 v[0:3], v4
	s_waitcnt lgkmcnt(0)
	v_add_f64 v[0:1], v[0:1], v[2:3]
	ds_write_b64 v4, v[0:1]
.LBB3_23:
	s_or_b64 exec, exec, s[0:1]
	s_waitcnt lgkmcnt(0)
	s_barrier
	s_and_saveexec_b64 s[0:1], vcc
	s_cbranch_execz .LBB3_25
; %bb.24:
	v_mov_b32_e32 v2, 0
	ds_read_b64 v[0:1], v2
	s_mov_b32 s3, 0
	s_lshl_b64 s[0:1], s[2:3], 3
	s_add_u32 s0, s10, s0
	s_addc_u32 s1, s11, s1
	s_waitcnt lgkmcnt(0)
	global_store_dwordx2 v2, v[0:1], s[0:1]
.LBB3_25:
	s_endpgm
	.section	.rodata,"a",@progbits
	.p2align	6, 0x0
	.amdhsa_kernel _ZN9rocsparseL17doti_kernel_part1ILj256ELj2EidddEEvT1_PKT2_PKS1_PKT3_PT4_21rocsparse_index_base_
		.amdhsa_group_segment_fixed_size 2048
		.amdhsa_private_segment_fixed_size 0
		.amdhsa_kernarg_size 304
		.amdhsa_user_sgpr_count 2
		.amdhsa_user_sgpr_dispatch_ptr 0
		.amdhsa_user_sgpr_queue_ptr 0
		.amdhsa_user_sgpr_kernarg_segment_ptr 1
		.amdhsa_user_sgpr_dispatch_id 0
		.amdhsa_user_sgpr_kernarg_preload_length 0
		.amdhsa_user_sgpr_kernarg_preload_offset 0
		.amdhsa_user_sgpr_private_segment_size 0
		.amdhsa_uses_dynamic_stack 0
		.amdhsa_enable_private_segment 0
		.amdhsa_system_sgpr_workgroup_id_x 1
		.amdhsa_system_sgpr_workgroup_id_y 0
		.amdhsa_system_sgpr_workgroup_id_z 0
		.amdhsa_system_sgpr_workgroup_info 0
		.amdhsa_system_vgpr_workitem_id 0
		.amdhsa_next_free_vgpr 14
		.amdhsa_next_free_sgpr 16
		.amdhsa_accum_offset 16
		.amdhsa_reserve_vcc 1
		.amdhsa_float_round_mode_32 0
		.amdhsa_float_round_mode_16_64 0
		.amdhsa_float_denorm_mode_32 3
		.amdhsa_float_denorm_mode_16_64 3
		.amdhsa_dx10_clamp 1
		.amdhsa_ieee_mode 1
		.amdhsa_fp16_overflow 0
		.amdhsa_tg_split 0
		.amdhsa_exception_fp_ieee_invalid_op 0
		.amdhsa_exception_fp_denorm_src 0
		.amdhsa_exception_fp_ieee_div_zero 0
		.amdhsa_exception_fp_ieee_overflow 0
		.amdhsa_exception_fp_ieee_underflow 0
		.amdhsa_exception_fp_ieee_inexact 0
		.amdhsa_exception_int_div_zero 0
	.end_amdhsa_kernel
	.section	.text._ZN9rocsparseL17doti_kernel_part1ILj256ELj2EidddEEvT1_PKT2_PKS1_PKT3_PT4_21rocsparse_index_base_,"axG",@progbits,_ZN9rocsparseL17doti_kernel_part1ILj256ELj2EidddEEvT1_PKT2_PKS1_PKT3_PT4_21rocsparse_index_base_,comdat
.Lfunc_end3:
	.size	_ZN9rocsparseL17doti_kernel_part1ILj256ELj2EidddEEvT1_PKT2_PKS1_PKT3_PT4_21rocsparse_index_base_, .Lfunc_end3-_ZN9rocsparseL17doti_kernel_part1ILj256ELj2EidddEEvT1_PKT2_PKS1_PKT3_PT4_21rocsparse_index_base_
                                        ; -- End function
	.set _ZN9rocsparseL17doti_kernel_part1ILj256ELj2EidddEEvT1_PKT2_PKS1_PKT3_PT4_21rocsparse_index_base_.num_vgpr, 14
	.set _ZN9rocsparseL17doti_kernel_part1ILj256ELj2EidddEEvT1_PKT2_PKS1_PKT3_PT4_21rocsparse_index_base_.num_agpr, 0
	.set _ZN9rocsparseL17doti_kernel_part1ILj256ELj2EidddEEvT1_PKT2_PKS1_PKT3_PT4_21rocsparse_index_base_.numbered_sgpr, 16
	.set _ZN9rocsparseL17doti_kernel_part1ILj256ELj2EidddEEvT1_PKT2_PKS1_PKT3_PT4_21rocsparse_index_base_.num_named_barrier, 0
	.set _ZN9rocsparseL17doti_kernel_part1ILj256ELj2EidddEEvT1_PKT2_PKS1_PKT3_PT4_21rocsparse_index_base_.private_seg_size, 0
	.set _ZN9rocsparseL17doti_kernel_part1ILj256ELj2EidddEEvT1_PKT2_PKS1_PKT3_PT4_21rocsparse_index_base_.uses_vcc, 1
	.set _ZN9rocsparseL17doti_kernel_part1ILj256ELj2EidddEEvT1_PKT2_PKS1_PKT3_PT4_21rocsparse_index_base_.uses_flat_scratch, 0
	.set _ZN9rocsparseL17doti_kernel_part1ILj256ELj2EidddEEvT1_PKT2_PKS1_PKT3_PT4_21rocsparse_index_base_.has_dyn_sized_stack, 0
	.set _ZN9rocsparseL17doti_kernel_part1ILj256ELj2EidddEEvT1_PKT2_PKS1_PKT3_PT4_21rocsparse_index_base_.has_recursion, 0
	.set _ZN9rocsparseL17doti_kernel_part1ILj256ELj2EidddEEvT1_PKT2_PKS1_PKT3_PT4_21rocsparse_index_base_.has_indirect_call, 0
	.section	.AMDGPU.csdata,"",@progbits
; Kernel info:
; codeLenInByte = 872
; TotalNumSgprs: 22
; NumVgprs: 14
; NumAgprs: 0
; TotalNumVgprs: 14
; ScratchSize: 0
; MemoryBound: 0
; FloatMode: 240
; IeeeMode: 1
; LDSByteSize: 2048 bytes/workgroup (compile time only)
; SGPRBlocks: 2
; VGPRBlocks: 1
; NumSGPRsForWavesPerEU: 22
; NumVGPRsForWavesPerEU: 14
; AccumOffset: 16
; Occupancy: 8
; WaveLimiterHint : 1
; COMPUTE_PGM_RSRC2:SCRATCH_EN: 0
; COMPUTE_PGM_RSRC2:USER_SGPR: 2
; COMPUTE_PGM_RSRC2:TRAP_HANDLER: 0
; COMPUTE_PGM_RSRC2:TGID_X_EN: 1
; COMPUTE_PGM_RSRC2:TGID_Y_EN: 0
; COMPUTE_PGM_RSRC2:TGID_Z_EN: 0
; COMPUTE_PGM_RSRC2:TIDIG_COMP_CNT: 0
; COMPUTE_PGM_RSRC3_GFX90A:ACCUM_OFFSET: 3
; COMPUTE_PGM_RSRC3_GFX90A:TG_SPLIT: 0
	.section	.text._ZN9rocsparseL17doti_kernel_part2ILj256EdEEvPT0_S2_,"axG",@progbits,_ZN9rocsparseL17doti_kernel_part2ILj256EdEEvPT0_S2_,comdat
	.globl	_ZN9rocsparseL17doti_kernel_part2ILj256EdEEvPT0_S2_ ; -- Begin function _ZN9rocsparseL17doti_kernel_part2ILj256EdEEvPT0_S2_
	.p2align	8
	.type	_ZN9rocsparseL17doti_kernel_part2ILj256EdEEvPT0_S2_,@function
_ZN9rocsparseL17doti_kernel_part2ILj256EdEEvPT0_S2_: ; @_ZN9rocsparseL17doti_kernel_part2ILj256EdEEvPT0_S2_
; %bb.0:
	s_load_dwordx4 s[0:3], s[0:1], 0x0
	v_lshlrev_b32_e32 v1, 3, v0
	s_movk_i32 s4, 0x80
	v_cmp_gt_u32_e32 vcc, s4, v0
	s_waitcnt lgkmcnt(0)
	global_load_dwordx2 v[2:3], v1, s[0:1]
	s_waitcnt vmcnt(0)
	ds_write_b64 v1, v[2:3]
	s_waitcnt lgkmcnt(0)
	s_barrier
	s_and_saveexec_b64 s[4:5], vcc
	s_cbranch_execz .LBB4_2
; %bb.1:
	ds_read2st64_b64 v[2:5], v1 offset1:2
	s_waitcnt lgkmcnt(0)
	v_add_f64 v[2:3], v[2:3], v[4:5]
	ds_write_b64 v1, v[2:3]
.LBB4_2:
	s_or_b64 exec, exec, s[4:5]
	v_cmp_gt_u32_e32 vcc, 64, v0
	s_waitcnt lgkmcnt(0)
	s_barrier
	s_and_saveexec_b64 s[4:5], vcc
	s_cbranch_execz .LBB4_4
; %bb.3:
	ds_read2st64_b64 v[2:5], v1 offset1:1
	s_waitcnt lgkmcnt(0)
	v_add_f64 v[2:3], v[2:3], v[4:5]
	ds_write_b64 v1, v[2:3]
.LBB4_4:
	s_or_b64 exec, exec, s[4:5]
	v_cmp_gt_u32_e32 vcc, 32, v0
	s_waitcnt lgkmcnt(0)
	s_barrier
	s_and_saveexec_b64 s[4:5], vcc
	s_cbranch_execz .LBB4_6
; %bb.5:
	ds_read2_b64 v[2:5], v1 offset1:32
	s_waitcnt lgkmcnt(0)
	v_add_f64 v[2:3], v[2:3], v[4:5]
	ds_write_b64 v1, v[2:3]
.LBB4_6:
	s_or_b64 exec, exec, s[4:5]
	v_cmp_gt_u32_e32 vcc, 16, v0
	s_waitcnt lgkmcnt(0)
	s_barrier
	s_and_saveexec_b64 s[4:5], vcc
	s_cbranch_execz .LBB4_8
; %bb.7:
	ds_read2_b64 v[2:5], v1 offset1:16
	s_waitcnt lgkmcnt(0)
	v_add_f64 v[2:3], v[2:3], v[4:5]
	ds_write_b64 v1, v[2:3]
.LBB4_8:
	;; [unrolled: 12-line block ×5, first 2 shown]
	s_or_b64 exec, exec, s[4:5]
	v_cmp_eq_u32_e32 vcc, 0, v0
	s_waitcnt lgkmcnt(0)
	s_barrier
	s_and_saveexec_b64 s[4:5], vcc
	s_cbranch_execz .LBB4_16
; %bb.15:
	v_mov_b32_e32 v4, 0
	ds_read_b128 v[0:3], v4
	s_waitcnt lgkmcnt(0)
	v_add_f64 v[0:1], v[0:1], v[2:3]
	ds_write_b64 v4, v[0:1]
.LBB4_16:
	s_or_b64 exec, exec, s[4:5]
	s_waitcnt lgkmcnt(0)
	s_barrier
	s_and_saveexec_b64 s[4:5], vcc
	s_cbranch_execz .LBB4_18
; %bb.17:
	v_mov_b32_e32 v2, 0
	ds_read_b64 v[0:1], v2
	s_cmp_eq_u64 s[2:3], 0
	s_cselect_b32 s1, s1, s3
	s_cselect_b32 s0, s0, s2
	s_waitcnt lgkmcnt(0)
	global_store_dwordx2 v2, v[0:1], s[0:1]
.LBB4_18:
	s_endpgm
	.section	.rodata,"a",@progbits
	.p2align	6, 0x0
	.amdhsa_kernel _ZN9rocsparseL17doti_kernel_part2ILj256EdEEvPT0_S2_
		.amdhsa_group_segment_fixed_size 2048
		.amdhsa_private_segment_fixed_size 0
		.amdhsa_kernarg_size 16
		.amdhsa_user_sgpr_count 2
		.amdhsa_user_sgpr_dispatch_ptr 0
		.amdhsa_user_sgpr_queue_ptr 0
		.amdhsa_user_sgpr_kernarg_segment_ptr 1
		.amdhsa_user_sgpr_dispatch_id 0
		.amdhsa_user_sgpr_kernarg_preload_length 0
		.amdhsa_user_sgpr_kernarg_preload_offset 0
		.amdhsa_user_sgpr_private_segment_size 0
		.amdhsa_uses_dynamic_stack 0
		.amdhsa_enable_private_segment 0
		.amdhsa_system_sgpr_workgroup_id_x 1
		.amdhsa_system_sgpr_workgroup_id_y 0
		.amdhsa_system_sgpr_workgroup_id_z 0
		.amdhsa_system_sgpr_workgroup_info 0
		.amdhsa_system_vgpr_workitem_id 0
		.amdhsa_next_free_vgpr 6
		.amdhsa_next_free_sgpr 6
		.amdhsa_accum_offset 8
		.amdhsa_reserve_vcc 1
		.amdhsa_float_round_mode_32 0
		.amdhsa_float_round_mode_16_64 0
		.amdhsa_float_denorm_mode_32 3
		.amdhsa_float_denorm_mode_16_64 3
		.amdhsa_dx10_clamp 1
		.amdhsa_ieee_mode 1
		.amdhsa_fp16_overflow 0
		.amdhsa_tg_split 0
		.amdhsa_exception_fp_ieee_invalid_op 0
		.amdhsa_exception_fp_denorm_src 0
		.amdhsa_exception_fp_ieee_div_zero 0
		.amdhsa_exception_fp_ieee_overflow 0
		.amdhsa_exception_fp_ieee_underflow 0
		.amdhsa_exception_fp_ieee_inexact 0
		.amdhsa_exception_int_div_zero 0
	.end_amdhsa_kernel
	.section	.text._ZN9rocsparseL17doti_kernel_part2ILj256EdEEvPT0_S2_,"axG",@progbits,_ZN9rocsparseL17doti_kernel_part2ILj256EdEEvPT0_S2_,comdat
.Lfunc_end4:
	.size	_ZN9rocsparseL17doti_kernel_part2ILj256EdEEvPT0_S2_, .Lfunc_end4-_ZN9rocsparseL17doti_kernel_part2ILj256EdEEvPT0_S2_
                                        ; -- End function
	.set _ZN9rocsparseL17doti_kernel_part2ILj256EdEEvPT0_S2_.num_vgpr, 6
	.set _ZN9rocsparseL17doti_kernel_part2ILj256EdEEvPT0_S2_.num_agpr, 0
	.set _ZN9rocsparseL17doti_kernel_part2ILj256EdEEvPT0_S2_.numbered_sgpr, 6
	.set _ZN9rocsparseL17doti_kernel_part2ILj256EdEEvPT0_S2_.num_named_barrier, 0
	.set _ZN9rocsparseL17doti_kernel_part2ILj256EdEEvPT0_S2_.private_seg_size, 0
	.set _ZN9rocsparseL17doti_kernel_part2ILj256EdEEvPT0_S2_.uses_vcc, 1
	.set _ZN9rocsparseL17doti_kernel_part2ILj256EdEEvPT0_S2_.uses_flat_scratch, 0
	.set _ZN9rocsparseL17doti_kernel_part2ILj256EdEEvPT0_S2_.has_dyn_sized_stack, 0
	.set _ZN9rocsparseL17doti_kernel_part2ILj256EdEEvPT0_S2_.has_recursion, 0
	.set _ZN9rocsparseL17doti_kernel_part2ILj256EdEEvPT0_S2_.has_indirect_call, 0
	.section	.AMDGPU.csdata,"",@progbits
; Kernel info:
; codeLenInByte = 516
; TotalNumSgprs: 12
; NumVgprs: 6
; NumAgprs: 0
; TotalNumVgprs: 6
; ScratchSize: 0
; MemoryBound: 0
; FloatMode: 240
; IeeeMode: 1
; LDSByteSize: 2048 bytes/workgroup (compile time only)
; SGPRBlocks: 1
; VGPRBlocks: 0
; NumSGPRsForWavesPerEU: 12
; NumVGPRsForWavesPerEU: 6
; AccumOffset: 8
; Occupancy: 8
; WaveLimiterHint : 0
; COMPUTE_PGM_RSRC2:SCRATCH_EN: 0
; COMPUTE_PGM_RSRC2:USER_SGPR: 2
; COMPUTE_PGM_RSRC2:TRAP_HANDLER: 0
; COMPUTE_PGM_RSRC2:TGID_X_EN: 1
; COMPUTE_PGM_RSRC2:TGID_Y_EN: 0
; COMPUTE_PGM_RSRC2:TGID_Z_EN: 0
; COMPUTE_PGM_RSRC2:TIDIG_COMP_CNT: 0
; COMPUTE_PGM_RSRC3_GFX90A:ACCUM_OFFSET: 1
; COMPUTE_PGM_RSRC3_GFX90A:TG_SPLIT: 0
	.section	.text._ZN9rocsparseL17doti_kernel_part1ILj256ELj2EldddEEvT1_PKT2_PKS1_PKT3_PT4_21rocsparse_index_base_,"axG",@progbits,_ZN9rocsparseL17doti_kernel_part1ILj256ELj2EldddEEvT1_PKT2_PKS1_PKT3_PT4_21rocsparse_index_base_,comdat
	.globl	_ZN9rocsparseL17doti_kernel_part1ILj256ELj2EldddEEvT1_PKT2_PKS1_PKT3_PT4_21rocsparse_index_base_ ; -- Begin function _ZN9rocsparseL17doti_kernel_part1ILj256ELj2EldddEEvT1_PKT2_PKS1_PKT3_PT4_21rocsparse_index_base_
	.p2align	8
	.type	_ZN9rocsparseL17doti_kernel_part1ILj256ELj2EldddEEvT1_PKT2_PKS1_PKT3_PT4_21rocsparse_index_base_,@function
_ZN9rocsparseL17doti_kernel_part1ILj256ELj2EldddEEvT1_PKT2_PKS1_PKT3_PT4_21rocsparse_index_base_: ; @_ZN9rocsparseL17doti_kernel_part1ILj256ELj2EldddEEvT1_PKT2_PKS1_PKT3_PT4_21rocsparse_index_base_
; %bb.0:
	s_load_dwordx8 s[4:11], s[0:1], 0x0
	s_load_dwordx2 s[12:13], s[0:1], 0x20
	s_load_dword s3, s[0:1], 0x28
	s_load_dword s18, s[0:1], 0x30
	s_mov_b32 s1, 0
	s_lshl_b32 s14, s2, 8
	v_or_b32_e32 v1, s14, v0
	v_mov_b32_e32 v5, 0
	s_waitcnt lgkmcnt(0)
	s_lshl_b32 s0, s18, 9
	v_mov_b64_e32 v[2:3], s[0:1]
	v_cmp_le_i64_e32 vcc, s[4:5], v[2:3]
	v_mov_b64_e32 v[2:3], 0
	s_cbranch_vccnz .LBB5_3
; %bb.1:
	v_add_u32_e32 v4, s14, v1
	v_lshlrev_b64 v[4:5], 3, v[4:5]
	s_lshl_b64 s[16:17], s[0:1], 3
	v_mov_b64_e32 v[2:3], 0
	v_mov_b64_e32 v[6:7], s[4:5]
	s_mov_b64 s[14:15], s[0:1]
.LBB5_2:                                ; =>This Inner Loop Header: Depth=1
	v_lshl_add_u64 v[8:9], s[8:9], 0, v[4:5]
	global_load_dwordx2 v[10:11], v[8:9], off
	global_load_dwordx2 v[12:13], v[8:9], off offset:2048
	v_lshl_add_u64 v[8:9], s[6:7], 0, v[4:5]
	global_load_dwordx2 v[14:15], v[8:9], off
	global_load_dwordx2 v[16:17], v[8:9], off offset:2048
	s_add_u32 s14, s14, s0
	s_addc_u32 s15, s15, 0
	v_lshl_add_u64 v[4:5], v[4:5], 0, s[16:17]
	s_waitcnt vmcnt(3)
	v_subrev_co_u32_e32 v8, vcc, s3, v10
	s_nop 1
	v_subbrev_co_u32_e32 v9, vcc, 0, v11, vcc
	s_waitcnt vmcnt(2)
	v_subrev_co_u32_e32 v10, vcc, s3, v12
	v_lshl_add_u64 v[8:9], v[8:9], 3, s[10:11]
	s_nop 0
	v_subbrev_co_u32_e32 v11, vcc, 0, v13, vcc
	v_lshl_add_u64 v[10:11], v[10:11], 3, s[10:11]
	global_load_dwordx2 v[12:13], v[8:9], off
	global_load_dwordx2 v[18:19], v[10:11], off
	v_cmp_lt_i64_e32 vcc, s[14:15], v[6:7]
	s_and_b64 vcc, exec, vcc
	s_waitcnt vmcnt(1)
	v_fmac_f64_e32 v[2:3], v[12:13], v[14:15]
	s_waitcnt vmcnt(0)
	v_fmac_f64_e32 v[2:3], v[18:19], v[16:17]
	s_cbranch_vccnz .LBB5_2
	s_branch .LBB5_4
.LBB5_3:
	s_mov_b64 s[14:15], s[0:1]
.LBB5_4:
	v_subrev_co_u32_e32 v4, vcc, s0, v1
	s_nop 1
	v_subb_co_u32_e64 v5, s[0:1], 0, 0, vcc
	v_lshl_add_u64 v[4:5], v[4:5], 0, s[14:15]
	v_cmp_gt_i64_e32 vcc, s[4:5], v[4:5]
	s_and_saveexec_b64 s[0:1], vcc
	s_cbranch_execz .LBB5_8
; %bb.5:
	s_mov_b32 s15, 0
	s_lshl_b32 s14, s18, 8
	v_lshlrev_b64 v[6:7], 3, v[4:5]
	s_lshl_b64 s[18:19], s[14:15], 3
	s_mov_b64 s[16:17], 0
.LBB5_6:                                ; =>This Inner Loop Header: Depth=1
	v_lshl_add_u64 v[8:9], s[8:9], 0, v[6:7]
	global_load_dwordx2 v[8:9], v[8:9], off
	v_lshl_add_u64 v[10:11], s[6:7], 0, v[6:7]
	global_load_dwordx2 v[10:11], v[10:11], off
	v_lshl_add_u64 v[4:5], v[4:5], 0, s[14:15]
	v_lshl_add_u64 v[6:7], v[6:7], 0, s[18:19]
	s_waitcnt vmcnt(1)
	v_subrev_co_u32_e32 v8, vcc, s3, v8
	s_nop 1
	v_subbrev_co_u32_e32 v9, vcc, 0, v9, vcc
	v_lshl_add_u64 v[8:9], v[8:9], 3, s[10:11]
	global_load_dwordx2 v[8:9], v[8:9], off
	v_cmp_le_i64_e32 vcc, s[4:5], v[4:5]
	s_or_b64 s[16:17], vcc, s[16:17]
	s_waitcnt vmcnt(0)
	v_fmac_f64_e32 v[2:3], v[8:9], v[10:11]
	s_andn2_b64 exec, exec, s[16:17]
	s_cbranch_execnz .LBB5_6
; %bb.7:
	s_or_b64 exec, exec, s[16:17]
.LBB5_8:
	s_or_b64 exec, exec, s[0:1]
	s_movk_i32 s0, 0x80
	v_lshlrev_b32_e32 v1, 3, v0
	v_cmp_gt_u32_e32 vcc, s0, v0
	ds_write_b64 v1, v[2:3]
	s_waitcnt lgkmcnt(0)
	s_barrier
	s_and_saveexec_b64 s[0:1], vcc
	s_cbranch_execz .LBB5_10
; %bb.9:
	ds_read2st64_b64 v[2:5], v1 offset1:2
	s_waitcnt lgkmcnt(0)
	v_add_f64 v[2:3], v[2:3], v[4:5]
	ds_write_b64 v1, v[2:3]
.LBB5_10:
	s_or_b64 exec, exec, s[0:1]
	v_cmp_gt_u32_e32 vcc, 64, v0
	s_waitcnt lgkmcnt(0)
	s_barrier
	s_and_saveexec_b64 s[0:1], vcc
	s_cbranch_execz .LBB5_12
; %bb.11:
	ds_read2st64_b64 v[2:5], v1 offset1:1
	s_waitcnt lgkmcnt(0)
	v_add_f64 v[2:3], v[2:3], v[4:5]
	ds_write_b64 v1, v[2:3]
.LBB5_12:
	s_or_b64 exec, exec, s[0:1]
	v_cmp_gt_u32_e32 vcc, 32, v0
	s_waitcnt lgkmcnt(0)
	s_barrier
	s_and_saveexec_b64 s[0:1], vcc
	s_cbranch_execz .LBB5_14
; %bb.13:
	ds_read2_b64 v[2:5], v1 offset1:32
	s_waitcnt lgkmcnt(0)
	v_add_f64 v[2:3], v[2:3], v[4:5]
	ds_write_b64 v1, v[2:3]
.LBB5_14:
	s_or_b64 exec, exec, s[0:1]
	v_cmp_gt_u32_e32 vcc, 16, v0
	s_waitcnt lgkmcnt(0)
	s_barrier
	s_and_saveexec_b64 s[0:1], vcc
	s_cbranch_execz .LBB5_16
; %bb.15:
	ds_read2_b64 v[2:5], v1 offset1:16
	s_waitcnt lgkmcnt(0)
	v_add_f64 v[2:3], v[2:3], v[4:5]
	ds_write_b64 v1, v[2:3]
.LBB5_16:
	;; [unrolled: 12-line block ×5, first 2 shown]
	s_or_b64 exec, exec, s[0:1]
	v_cmp_eq_u32_e32 vcc, 0, v0
	s_waitcnt lgkmcnt(0)
	s_barrier
	s_and_saveexec_b64 s[0:1], vcc
	s_cbranch_execz .LBB5_24
; %bb.23:
	v_mov_b32_e32 v4, 0
	ds_read_b128 v[0:3], v4
	s_waitcnt lgkmcnt(0)
	v_add_f64 v[0:1], v[0:1], v[2:3]
	ds_write_b64 v4, v[0:1]
.LBB5_24:
	s_or_b64 exec, exec, s[0:1]
	s_waitcnt lgkmcnt(0)
	s_barrier
	s_and_saveexec_b64 s[0:1], vcc
	s_cbranch_execz .LBB5_26
; %bb.25:
	v_mov_b32_e32 v2, 0
	ds_read_b64 v[0:1], v2
	s_mov_b32 s3, 0
	s_lshl_b64 s[0:1], s[2:3], 3
	s_add_u32 s0, s12, s0
	s_addc_u32 s1, s13, s1
	s_waitcnt lgkmcnt(0)
	global_store_dwordx2 v2, v[0:1], s[0:1]
.LBB5_26:
	s_endpgm
	.section	.rodata,"a",@progbits
	.p2align	6, 0x0
	.amdhsa_kernel _ZN9rocsparseL17doti_kernel_part1ILj256ELj2EldddEEvT1_PKT2_PKS1_PKT3_PT4_21rocsparse_index_base_
		.amdhsa_group_segment_fixed_size 2048
		.amdhsa_private_segment_fixed_size 0
		.amdhsa_kernarg_size 304
		.amdhsa_user_sgpr_count 2
		.amdhsa_user_sgpr_dispatch_ptr 0
		.amdhsa_user_sgpr_queue_ptr 0
		.amdhsa_user_sgpr_kernarg_segment_ptr 1
		.amdhsa_user_sgpr_dispatch_id 0
		.amdhsa_user_sgpr_kernarg_preload_length 0
		.amdhsa_user_sgpr_kernarg_preload_offset 0
		.amdhsa_user_sgpr_private_segment_size 0
		.amdhsa_uses_dynamic_stack 0
		.amdhsa_enable_private_segment 0
		.amdhsa_system_sgpr_workgroup_id_x 1
		.amdhsa_system_sgpr_workgroup_id_y 0
		.amdhsa_system_sgpr_workgroup_id_z 0
		.amdhsa_system_sgpr_workgroup_info 0
		.amdhsa_system_vgpr_workitem_id 0
		.amdhsa_next_free_vgpr 20
		.amdhsa_next_free_sgpr 20
		.amdhsa_accum_offset 20
		.amdhsa_reserve_vcc 1
		.amdhsa_float_round_mode_32 0
		.amdhsa_float_round_mode_16_64 0
		.amdhsa_float_denorm_mode_32 3
		.amdhsa_float_denorm_mode_16_64 3
		.amdhsa_dx10_clamp 1
		.amdhsa_ieee_mode 1
		.amdhsa_fp16_overflow 0
		.amdhsa_tg_split 0
		.amdhsa_exception_fp_ieee_invalid_op 0
		.amdhsa_exception_fp_denorm_src 0
		.amdhsa_exception_fp_ieee_div_zero 0
		.amdhsa_exception_fp_ieee_overflow 0
		.amdhsa_exception_fp_ieee_underflow 0
		.amdhsa_exception_fp_ieee_inexact 0
		.amdhsa_exception_int_div_zero 0
	.end_amdhsa_kernel
	.section	.text._ZN9rocsparseL17doti_kernel_part1ILj256ELj2EldddEEvT1_PKT2_PKS1_PKT3_PT4_21rocsparse_index_base_,"axG",@progbits,_ZN9rocsparseL17doti_kernel_part1ILj256ELj2EldddEEvT1_PKT2_PKS1_PKT3_PT4_21rocsparse_index_base_,comdat
.Lfunc_end5:
	.size	_ZN9rocsparseL17doti_kernel_part1ILj256ELj2EldddEEvT1_PKT2_PKS1_PKT3_PT4_21rocsparse_index_base_, .Lfunc_end5-_ZN9rocsparseL17doti_kernel_part1ILj256ELj2EldddEEvT1_PKT2_PKS1_PKT3_PT4_21rocsparse_index_base_
                                        ; -- End function
	.set _ZN9rocsparseL17doti_kernel_part1ILj256ELj2EldddEEvT1_PKT2_PKS1_PKT3_PT4_21rocsparse_index_base_.num_vgpr, 20
	.set _ZN9rocsparseL17doti_kernel_part1ILj256ELj2EldddEEvT1_PKT2_PKS1_PKT3_PT4_21rocsparse_index_base_.num_agpr, 0
	.set _ZN9rocsparseL17doti_kernel_part1ILj256ELj2EldddEEvT1_PKT2_PKS1_PKT3_PT4_21rocsparse_index_base_.numbered_sgpr, 20
	.set _ZN9rocsparseL17doti_kernel_part1ILj256ELj2EldddEEvT1_PKT2_PKS1_PKT3_PT4_21rocsparse_index_base_.num_named_barrier, 0
	.set _ZN9rocsparseL17doti_kernel_part1ILj256ELj2EldddEEvT1_PKT2_PKS1_PKT3_PT4_21rocsparse_index_base_.private_seg_size, 0
	.set _ZN9rocsparseL17doti_kernel_part1ILj256ELj2EldddEEvT1_PKT2_PKS1_PKT3_PT4_21rocsparse_index_base_.uses_vcc, 1
	.set _ZN9rocsparseL17doti_kernel_part1ILj256ELj2EldddEEvT1_PKT2_PKS1_PKT3_PT4_21rocsparse_index_base_.uses_flat_scratch, 0
	.set _ZN9rocsparseL17doti_kernel_part1ILj256ELj2EldddEEvT1_PKT2_PKS1_PKT3_PT4_21rocsparse_index_base_.has_dyn_sized_stack, 0
	.set _ZN9rocsparseL17doti_kernel_part1ILj256ELj2EldddEEvT1_PKT2_PKS1_PKT3_PT4_21rocsparse_index_base_.has_recursion, 0
	.set _ZN9rocsparseL17doti_kernel_part1ILj256ELj2EldddEEvT1_PKT2_PKS1_PKT3_PT4_21rocsparse_index_base_.has_indirect_call, 0
	.section	.AMDGPU.csdata,"",@progbits
; Kernel info:
; codeLenInByte = 932
; TotalNumSgprs: 26
; NumVgprs: 20
; NumAgprs: 0
; TotalNumVgprs: 20
; ScratchSize: 0
; MemoryBound: 1
; FloatMode: 240
; IeeeMode: 1
; LDSByteSize: 2048 bytes/workgroup (compile time only)
; SGPRBlocks: 3
; VGPRBlocks: 2
; NumSGPRsForWavesPerEU: 26
; NumVGPRsForWavesPerEU: 20
; AccumOffset: 20
; Occupancy: 8
; WaveLimiterHint : 1
; COMPUTE_PGM_RSRC2:SCRATCH_EN: 0
; COMPUTE_PGM_RSRC2:USER_SGPR: 2
; COMPUTE_PGM_RSRC2:TRAP_HANDLER: 0
; COMPUTE_PGM_RSRC2:TGID_X_EN: 1
; COMPUTE_PGM_RSRC2:TGID_Y_EN: 0
; COMPUTE_PGM_RSRC2:TGID_Z_EN: 0
; COMPUTE_PGM_RSRC2:TIDIG_COMP_CNT: 0
; COMPUTE_PGM_RSRC3_GFX90A:ACCUM_OFFSET: 4
; COMPUTE_PGM_RSRC3_GFX90A:TG_SPLIT: 0
	.section	.text._ZN9rocsparseL17doti_kernel_part1ILj256ELj2Ei21rocsparse_complex_numIfES2_S2_EEvT1_PKT2_PKS3_PKT3_PT4_21rocsparse_index_base_,"axG",@progbits,_ZN9rocsparseL17doti_kernel_part1ILj256ELj2Ei21rocsparse_complex_numIfES2_S2_EEvT1_PKT2_PKS3_PKT3_PT4_21rocsparse_index_base_,comdat
	.globl	_ZN9rocsparseL17doti_kernel_part1ILj256ELj2Ei21rocsparse_complex_numIfES2_S2_EEvT1_PKT2_PKS3_PKT3_PT4_21rocsparse_index_base_ ; -- Begin function _ZN9rocsparseL17doti_kernel_part1ILj256ELj2Ei21rocsparse_complex_numIfES2_S2_EEvT1_PKT2_PKS3_PKT3_PT4_21rocsparse_index_base_
	.p2align	8
	.type	_ZN9rocsparseL17doti_kernel_part1ILj256ELj2Ei21rocsparse_complex_numIfES2_S2_EEvT1_PKT2_PKS3_PKT3_PT4_21rocsparse_index_base_,@function
_ZN9rocsparseL17doti_kernel_part1ILj256ELj2Ei21rocsparse_complex_numIfES2_S2_EEvT1_PKT2_PKS3_PKT3_PT4_21rocsparse_index_base_: ; @_ZN9rocsparseL17doti_kernel_part1ILj256ELj2Ei21rocsparse_complex_numIfES2_S2_EEvT1_PKT2_PKS3_PKT3_PT4_21rocsparse_index_base_
; %bb.0:
	s_load_dword s12, s[0:1], 0x30
	s_load_dword s3, s[0:1], 0x0
	;; [unrolled: 1-line block ×3, first 2 shown]
	s_load_dwordx8 s[4:11], s[0:1], 0x8
	s_mov_b32 s1, 0
	s_waitcnt lgkmcnt(0)
	s_lshl_b32 s0, s12, 9
	s_cmp_ge_i32 s0, s3
	s_cbranch_scc1 .LBB6_3
; %bb.1:
	v_mov_b32_e32 v5, 0
	v_lshl_or_b32 v1, s2, 9, v0
	v_mov_b32_e32 v2, v5
	v_mov_b32_e32 v3, v5
.LBB6_2:                                ; =>This Inner Loop Header: Depth=1
	v_add_u32_e32 v4, s1, v1
	v_lshl_add_u64 v[6:7], v[4:5], 2, s[6:7]
	global_load_dword v12, v[6:7], off
	v_lshl_add_u64 v[8:9], v[4:5], 3, s[4:5]
	v_add_u32_e32 v4, 0x100, v4
	v_lshl_add_u64 v[6:7], v[4:5], 2, s[6:7]
	global_load_dword v13, v[6:7], off
	global_load_dwordx2 v[10:11], v[8:9], off
	v_lshl_add_u64 v[6:7], v[4:5], 3, s[4:5]
	global_load_dwordx2 v[6:7], v[6:7], off
	s_add_i32 s1, s1, s0
	s_add_i32 s13, s0, s1
	s_cmp_lt_i32 s13, s3
	s_waitcnt vmcnt(3)
	v_subrev_u32_e32 v8, s14, v12
	v_ashrrev_i32_e32 v9, 31, v8
	v_lshl_add_u64 v[8:9], v[8:9], 3, s[8:9]
	s_waitcnt vmcnt(2)
	v_subrev_u32_e32 v12, s14, v13
	v_ashrrev_i32_e32 v13, 31, v12
	global_load_dwordx2 v[8:9], v[8:9], off
	v_lshl_add_u64 v[12:13], v[12:13], 3, s[8:9]
	global_load_dwordx2 v[12:13], v[12:13], off
	s_waitcnt vmcnt(1)
	v_xor_b32_e32 v14, 0x80000000, v9
	v_pk_fma_f32 v[2:3], v[8:9], v[10:11], v[2:3] op_sel_hi:[1,0,1]
	v_mov_b32_e32 v15, v8
	v_pk_fma_f32 v[2:3], v[14:15], v[10:11], v[2:3] op_sel:[0,1,0]
	s_waitcnt vmcnt(0)
	v_xor_b32_e32 v8, 0x80000000, v13
	v_mov_b32_e32 v9, v12
	v_pk_fma_f32 v[2:3], v[12:13], v[6:7], v[2:3] op_sel_hi:[1,0,1]
	s_nop 0
	v_pk_fma_f32 v[2:3], v[8:9], v[6:7], v[2:3] op_sel:[0,1,0]
	s_cbranch_scc1 .LBB6_2
	s_branch .LBB6_4
.LBB6_3:
	v_mov_b32_e32 v2, 0
	v_mov_b32_e32 v3, v2
	s_mov_b32 s13, s0
.LBB6_4:
	v_lshl_or_b32 v1, s2, 8, v0
	v_subrev_u32_e32 v1, s0, v1
	v_add_u32_e32 v4, s13, v1
	v_cmp_gt_i32_e32 vcc, s3, v4
	s_and_saveexec_b64 s[0:1], vcc
	s_cbranch_execz .LBB6_8
; %bb.5:
	s_lshl_b32 s15, s12, 8
	s_mov_b64 s[12:13], 0
.LBB6_6:                                ; =>This Inner Loop Header: Depth=1
	v_ashrrev_i32_e32 v5, 31, v4
	v_lshl_add_u64 v[6:7], v[4:5], 2, s[6:7]
	global_load_dword v1, v[6:7], off
	v_lshl_add_u64 v[6:7], v[4:5], 3, s[4:5]
	global_load_dwordx2 v[6:7], v[6:7], off
	v_add_u32_e32 v4, s15, v4
	v_cmp_le_i32_e32 vcc, s3, v4
	s_or_b64 s[12:13], vcc, s[12:13]
	s_waitcnt vmcnt(1)
	v_subrev_u32_e32 v8, s14, v1
	v_ashrrev_i32_e32 v9, 31, v8
	v_lshl_add_u64 v[8:9], v[8:9], 3, s[8:9]
	global_load_dwordx2 v[8:9], v[8:9], off
	s_waitcnt vmcnt(0)
	v_xor_b32_e32 v10, 0x80000000, v9
	v_pk_fma_f32 v[2:3], v[8:9], v[6:7], v[2:3] op_sel_hi:[1,0,1]
	v_mov_b32_e32 v11, v8
	v_pk_fma_f32 v[2:3], v[10:11], v[6:7], v[2:3] op_sel:[0,1,0]
	s_andn2_b64 exec, exec, s[12:13]
	s_cbranch_execnz .LBB6_6
; %bb.7:
	s_or_b64 exec, exec, s[12:13]
.LBB6_8:
	s_or_b64 exec, exec, s[0:1]
	s_movk_i32 s0, 0x80
	v_lshlrev_b32_e32 v1, 3, v0
	v_cmp_gt_u32_e32 vcc, s0, v0
	ds_write_b64 v1, v[2:3]
	s_waitcnt lgkmcnt(0)
	s_barrier
	s_and_saveexec_b64 s[0:1], vcc
	s_cbranch_execz .LBB6_10
; %bb.9:
	ds_read2st64_b64 v[2:5], v1 offset1:2
	s_waitcnt lgkmcnt(0)
	v_pk_add_f32 v[2:3], v[4:5], v[2:3]
	ds_write_b64 v1, v[2:3]
.LBB6_10:
	s_or_b64 exec, exec, s[0:1]
	v_cmp_gt_u32_e32 vcc, 64, v0
	s_waitcnt lgkmcnt(0)
	s_barrier
	s_and_saveexec_b64 s[0:1], vcc
	s_cbranch_execz .LBB6_12
; %bb.11:
	ds_read2st64_b64 v[2:5], v1 offset1:1
	s_waitcnt lgkmcnt(0)
	v_pk_add_f32 v[2:3], v[4:5], v[2:3]
	ds_write_b64 v1, v[2:3]
.LBB6_12:
	s_or_b64 exec, exec, s[0:1]
	v_cmp_gt_u32_e32 vcc, 32, v0
	s_waitcnt lgkmcnt(0)
	s_barrier
	s_and_saveexec_b64 s[0:1], vcc
	s_cbranch_execz .LBB6_14
; %bb.13:
	ds_read2_b64 v[2:5], v1 offset1:32
	s_waitcnt lgkmcnt(0)
	v_pk_add_f32 v[2:3], v[4:5], v[2:3]
	ds_write_b64 v1, v[2:3]
.LBB6_14:
	s_or_b64 exec, exec, s[0:1]
	v_cmp_gt_u32_e32 vcc, 16, v0
	s_waitcnt lgkmcnt(0)
	s_barrier
	s_and_saveexec_b64 s[0:1], vcc
	s_cbranch_execz .LBB6_16
; %bb.15:
	ds_read2_b64 v[2:5], v1 offset1:16
	s_waitcnt lgkmcnt(0)
	v_pk_add_f32 v[2:3], v[4:5], v[2:3]
	ds_write_b64 v1, v[2:3]
.LBB6_16:
	;; [unrolled: 12-line block ×5, first 2 shown]
	s_or_b64 exec, exec, s[0:1]
	v_cmp_eq_u32_e32 vcc, 0, v0
	s_waitcnt lgkmcnt(0)
	s_barrier
	s_and_saveexec_b64 s[0:1], vcc
	s_cbranch_execz .LBB6_24
; %bb.23:
	v_mov_b32_e32 v4, 0
	ds_read2_b64 v[0:3], v4 offset1:1
	s_waitcnt lgkmcnt(0)
	v_pk_add_f32 v[0:1], v[2:3], v[0:1]
	ds_write_b64 v4, v[0:1]
.LBB6_24:
	s_or_b64 exec, exec, s[0:1]
	s_waitcnt lgkmcnt(0)
	s_barrier
	s_and_saveexec_b64 s[0:1], vcc
	s_cbranch_execz .LBB6_26
; %bb.25:
	v_mov_b32_e32 v2, 0
	ds_read_b64 v[0:1], v2
	s_mov_b32 s3, 0
	s_lshl_b64 s[0:1], s[2:3], 3
	s_add_u32 s0, s10, s0
	s_addc_u32 s1, s11, s1
	s_waitcnt lgkmcnt(0)
	global_store_dwordx2 v2, v[0:1], s[0:1]
.LBB6_26:
	s_endpgm
	.section	.rodata,"a",@progbits
	.p2align	6, 0x0
	.amdhsa_kernel _ZN9rocsparseL17doti_kernel_part1ILj256ELj2Ei21rocsparse_complex_numIfES2_S2_EEvT1_PKT2_PKS3_PKT3_PT4_21rocsparse_index_base_
		.amdhsa_group_segment_fixed_size 2048
		.amdhsa_private_segment_fixed_size 0
		.amdhsa_kernarg_size 304
		.amdhsa_user_sgpr_count 2
		.amdhsa_user_sgpr_dispatch_ptr 0
		.amdhsa_user_sgpr_queue_ptr 0
		.amdhsa_user_sgpr_kernarg_segment_ptr 1
		.amdhsa_user_sgpr_dispatch_id 0
		.amdhsa_user_sgpr_kernarg_preload_length 0
		.amdhsa_user_sgpr_kernarg_preload_offset 0
		.amdhsa_user_sgpr_private_segment_size 0
		.amdhsa_uses_dynamic_stack 0
		.amdhsa_enable_private_segment 0
		.amdhsa_system_sgpr_workgroup_id_x 1
		.amdhsa_system_sgpr_workgroup_id_y 0
		.amdhsa_system_sgpr_workgroup_id_z 0
		.amdhsa_system_sgpr_workgroup_info 0
		.amdhsa_system_vgpr_workitem_id 0
		.amdhsa_next_free_vgpr 16
		.amdhsa_next_free_sgpr 16
		.amdhsa_accum_offset 16
		.amdhsa_reserve_vcc 1
		.amdhsa_float_round_mode_32 0
		.amdhsa_float_round_mode_16_64 0
		.amdhsa_float_denorm_mode_32 3
		.amdhsa_float_denorm_mode_16_64 3
		.amdhsa_dx10_clamp 1
		.amdhsa_ieee_mode 1
		.amdhsa_fp16_overflow 0
		.amdhsa_tg_split 0
		.amdhsa_exception_fp_ieee_invalid_op 0
		.amdhsa_exception_fp_denorm_src 0
		.amdhsa_exception_fp_ieee_div_zero 0
		.amdhsa_exception_fp_ieee_overflow 0
		.amdhsa_exception_fp_ieee_underflow 0
		.amdhsa_exception_fp_ieee_inexact 0
		.amdhsa_exception_int_div_zero 0
	.end_amdhsa_kernel
	.section	.text._ZN9rocsparseL17doti_kernel_part1ILj256ELj2Ei21rocsparse_complex_numIfES2_S2_EEvT1_PKT2_PKS3_PKT3_PT4_21rocsparse_index_base_,"axG",@progbits,_ZN9rocsparseL17doti_kernel_part1ILj256ELj2Ei21rocsparse_complex_numIfES2_S2_EEvT1_PKT2_PKS3_PKT3_PT4_21rocsparse_index_base_,comdat
.Lfunc_end6:
	.size	_ZN9rocsparseL17doti_kernel_part1ILj256ELj2Ei21rocsparse_complex_numIfES2_S2_EEvT1_PKT2_PKS3_PKT3_PT4_21rocsparse_index_base_, .Lfunc_end6-_ZN9rocsparseL17doti_kernel_part1ILj256ELj2Ei21rocsparse_complex_numIfES2_S2_EEvT1_PKT2_PKS3_PKT3_PT4_21rocsparse_index_base_
                                        ; -- End function
	.set _ZN9rocsparseL17doti_kernel_part1ILj256ELj2Ei21rocsparse_complex_numIfES2_S2_EEvT1_PKT2_PKS3_PKT3_PT4_21rocsparse_index_base_.num_vgpr, 16
	.set _ZN9rocsparseL17doti_kernel_part1ILj256ELj2Ei21rocsparse_complex_numIfES2_S2_EEvT1_PKT2_PKS3_PKT3_PT4_21rocsparse_index_base_.num_agpr, 0
	.set _ZN9rocsparseL17doti_kernel_part1ILj256ELj2Ei21rocsparse_complex_numIfES2_S2_EEvT1_PKT2_PKS3_PKT3_PT4_21rocsparse_index_base_.numbered_sgpr, 16
	.set _ZN9rocsparseL17doti_kernel_part1ILj256ELj2Ei21rocsparse_complex_numIfES2_S2_EEvT1_PKT2_PKS3_PKT3_PT4_21rocsparse_index_base_.num_named_barrier, 0
	.set _ZN9rocsparseL17doti_kernel_part1ILj256ELj2Ei21rocsparse_complex_numIfES2_S2_EEvT1_PKT2_PKS3_PKT3_PT4_21rocsparse_index_base_.private_seg_size, 0
	.set _ZN9rocsparseL17doti_kernel_part1ILj256ELj2Ei21rocsparse_complex_numIfES2_S2_EEvT1_PKT2_PKS3_PKT3_PT4_21rocsparse_index_base_.uses_vcc, 1
	.set _ZN9rocsparseL17doti_kernel_part1ILj256ELj2Ei21rocsparse_complex_numIfES2_S2_EEvT1_PKT2_PKS3_PKT3_PT4_21rocsparse_index_base_.uses_flat_scratch, 0
	.set _ZN9rocsparseL17doti_kernel_part1ILj256ELj2Ei21rocsparse_complex_numIfES2_S2_EEvT1_PKT2_PKS3_PKT3_PT4_21rocsparse_index_base_.has_dyn_sized_stack, 0
	.set _ZN9rocsparseL17doti_kernel_part1ILj256ELj2Ei21rocsparse_complex_numIfES2_S2_EEvT1_PKT2_PKS3_PKT3_PT4_21rocsparse_index_base_.has_recursion, 0
	.set _ZN9rocsparseL17doti_kernel_part1ILj256ELj2Ei21rocsparse_complex_numIfES2_S2_EEvT1_PKT2_PKS3_PKT3_PT4_21rocsparse_index_base_.has_indirect_call, 0
	.section	.AMDGPU.csdata,"",@progbits
; Kernel info:
; codeLenInByte = 960
; TotalNumSgprs: 22
; NumVgprs: 16
; NumAgprs: 0
; TotalNumVgprs: 16
; ScratchSize: 0
; MemoryBound: 0
; FloatMode: 240
; IeeeMode: 1
; LDSByteSize: 2048 bytes/workgroup (compile time only)
; SGPRBlocks: 2
; VGPRBlocks: 1
; NumSGPRsForWavesPerEU: 22
; NumVGPRsForWavesPerEU: 16
; AccumOffset: 16
; Occupancy: 8
; WaveLimiterHint : 1
; COMPUTE_PGM_RSRC2:SCRATCH_EN: 0
; COMPUTE_PGM_RSRC2:USER_SGPR: 2
; COMPUTE_PGM_RSRC2:TRAP_HANDLER: 0
; COMPUTE_PGM_RSRC2:TGID_X_EN: 1
; COMPUTE_PGM_RSRC2:TGID_Y_EN: 0
; COMPUTE_PGM_RSRC2:TGID_Z_EN: 0
; COMPUTE_PGM_RSRC2:TIDIG_COMP_CNT: 0
; COMPUTE_PGM_RSRC3_GFX90A:ACCUM_OFFSET: 3
; COMPUTE_PGM_RSRC3_GFX90A:TG_SPLIT: 0
	.section	.text._ZN9rocsparseL17doti_kernel_part2ILj256E21rocsparse_complex_numIfEEEvPT0_S4_,"axG",@progbits,_ZN9rocsparseL17doti_kernel_part2ILj256E21rocsparse_complex_numIfEEEvPT0_S4_,comdat
	.globl	_ZN9rocsparseL17doti_kernel_part2ILj256E21rocsparse_complex_numIfEEEvPT0_S4_ ; -- Begin function _ZN9rocsparseL17doti_kernel_part2ILj256E21rocsparse_complex_numIfEEEvPT0_S4_
	.p2align	8
	.type	_ZN9rocsparseL17doti_kernel_part2ILj256E21rocsparse_complex_numIfEEEvPT0_S4_,@function
_ZN9rocsparseL17doti_kernel_part2ILj256E21rocsparse_complex_numIfEEEvPT0_S4_: ; @_ZN9rocsparseL17doti_kernel_part2ILj256E21rocsparse_complex_numIfEEEvPT0_S4_
; %bb.0:
	s_load_dwordx4 s[0:3], s[0:1], 0x0
	v_lshlrev_b32_e32 v1, 3, v0
	s_movk_i32 s4, 0x80
	v_cmp_gt_u32_e32 vcc, s4, v0
	s_waitcnt lgkmcnt(0)
	global_load_dwordx2 v[2:3], v1, s[0:1]
	s_waitcnt vmcnt(0)
	ds_write_b64 v1, v[2:3]
	s_waitcnt lgkmcnt(0)
	s_barrier
	s_and_saveexec_b64 s[4:5], vcc
	s_cbranch_execz .LBB7_2
; %bb.1:
	ds_read2st64_b64 v[2:5], v1 offset1:2
	s_waitcnt lgkmcnt(0)
	v_pk_add_f32 v[2:3], v[4:5], v[2:3]
	ds_write_b64 v1, v[2:3]
.LBB7_2:
	s_or_b64 exec, exec, s[4:5]
	v_cmp_gt_u32_e32 vcc, 64, v0
	s_waitcnt lgkmcnt(0)
	s_barrier
	s_and_saveexec_b64 s[4:5], vcc
	s_cbranch_execz .LBB7_4
; %bb.3:
	ds_read2st64_b64 v[2:5], v1 offset1:1
	s_waitcnt lgkmcnt(0)
	v_pk_add_f32 v[2:3], v[4:5], v[2:3]
	ds_write_b64 v1, v[2:3]
.LBB7_4:
	s_or_b64 exec, exec, s[4:5]
	v_cmp_gt_u32_e32 vcc, 32, v0
	s_waitcnt lgkmcnt(0)
	s_barrier
	s_and_saveexec_b64 s[4:5], vcc
	s_cbranch_execz .LBB7_6
; %bb.5:
	ds_read2_b64 v[2:5], v1 offset1:32
	s_waitcnt lgkmcnt(0)
	v_pk_add_f32 v[2:3], v[4:5], v[2:3]
	ds_write_b64 v1, v[2:3]
.LBB7_6:
	s_or_b64 exec, exec, s[4:5]
	v_cmp_gt_u32_e32 vcc, 16, v0
	s_waitcnt lgkmcnt(0)
	s_barrier
	s_and_saveexec_b64 s[4:5], vcc
	s_cbranch_execz .LBB7_8
; %bb.7:
	ds_read2_b64 v[2:5], v1 offset1:16
	s_waitcnt lgkmcnt(0)
	v_pk_add_f32 v[2:3], v[4:5], v[2:3]
	ds_write_b64 v1, v[2:3]
.LBB7_8:
	;; [unrolled: 12-line block ×5, first 2 shown]
	s_or_b64 exec, exec, s[4:5]
	v_cmp_eq_u32_e32 vcc, 0, v0
	s_waitcnt lgkmcnt(0)
	s_barrier
	s_and_saveexec_b64 s[4:5], vcc
	s_cbranch_execz .LBB7_16
; %bb.15:
	v_mov_b32_e32 v4, 0
	ds_read2_b64 v[0:3], v4 offset1:1
	s_waitcnt lgkmcnt(0)
	v_pk_add_f32 v[0:1], v[2:3], v[0:1]
	ds_write_b64 v4, v[0:1]
.LBB7_16:
	s_or_b64 exec, exec, s[4:5]
	s_waitcnt lgkmcnt(0)
	s_barrier
	s_and_saveexec_b64 s[4:5], vcc
	s_cbranch_execz .LBB7_18
; %bb.17:
	v_mov_b32_e32 v2, 0
	ds_read_b64 v[0:1], v2
	s_cmp_eq_u64 s[2:3], 0
	s_cselect_b32 s1, s1, s3
	s_cselect_b32 s0, s0, s2
	s_waitcnt lgkmcnt(0)
	global_store_dwordx2 v2, v[0:1], s[0:1]
.LBB7_18:
	s_endpgm
	.section	.rodata,"a",@progbits
	.p2align	6, 0x0
	.amdhsa_kernel _ZN9rocsparseL17doti_kernel_part2ILj256E21rocsparse_complex_numIfEEEvPT0_S4_
		.amdhsa_group_segment_fixed_size 2048
		.amdhsa_private_segment_fixed_size 0
		.amdhsa_kernarg_size 16
		.amdhsa_user_sgpr_count 2
		.amdhsa_user_sgpr_dispatch_ptr 0
		.amdhsa_user_sgpr_queue_ptr 0
		.amdhsa_user_sgpr_kernarg_segment_ptr 1
		.amdhsa_user_sgpr_dispatch_id 0
		.amdhsa_user_sgpr_kernarg_preload_length 0
		.amdhsa_user_sgpr_kernarg_preload_offset 0
		.amdhsa_user_sgpr_private_segment_size 0
		.amdhsa_uses_dynamic_stack 0
		.amdhsa_enable_private_segment 0
		.amdhsa_system_sgpr_workgroup_id_x 1
		.amdhsa_system_sgpr_workgroup_id_y 0
		.amdhsa_system_sgpr_workgroup_id_z 0
		.amdhsa_system_sgpr_workgroup_info 0
		.amdhsa_system_vgpr_workitem_id 0
		.amdhsa_next_free_vgpr 6
		.amdhsa_next_free_sgpr 6
		.amdhsa_accum_offset 8
		.amdhsa_reserve_vcc 1
		.amdhsa_float_round_mode_32 0
		.amdhsa_float_round_mode_16_64 0
		.amdhsa_float_denorm_mode_32 3
		.amdhsa_float_denorm_mode_16_64 3
		.amdhsa_dx10_clamp 1
		.amdhsa_ieee_mode 1
		.amdhsa_fp16_overflow 0
		.amdhsa_tg_split 0
		.amdhsa_exception_fp_ieee_invalid_op 0
		.amdhsa_exception_fp_denorm_src 0
		.amdhsa_exception_fp_ieee_div_zero 0
		.amdhsa_exception_fp_ieee_overflow 0
		.amdhsa_exception_fp_ieee_underflow 0
		.amdhsa_exception_fp_ieee_inexact 0
		.amdhsa_exception_int_div_zero 0
	.end_amdhsa_kernel
	.section	.text._ZN9rocsparseL17doti_kernel_part2ILj256E21rocsparse_complex_numIfEEEvPT0_S4_,"axG",@progbits,_ZN9rocsparseL17doti_kernel_part2ILj256E21rocsparse_complex_numIfEEEvPT0_S4_,comdat
.Lfunc_end7:
	.size	_ZN9rocsparseL17doti_kernel_part2ILj256E21rocsparse_complex_numIfEEEvPT0_S4_, .Lfunc_end7-_ZN9rocsparseL17doti_kernel_part2ILj256E21rocsparse_complex_numIfEEEvPT0_S4_
                                        ; -- End function
	.set _ZN9rocsparseL17doti_kernel_part2ILj256E21rocsparse_complex_numIfEEEvPT0_S4_.num_vgpr, 6
	.set _ZN9rocsparseL17doti_kernel_part2ILj256E21rocsparse_complex_numIfEEEvPT0_S4_.num_agpr, 0
	.set _ZN9rocsparseL17doti_kernel_part2ILj256E21rocsparse_complex_numIfEEEvPT0_S4_.numbered_sgpr, 6
	.set _ZN9rocsparseL17doti_kernel_part2ILj256E21rocsparse_complex_numIfEEEvPT0_S4_.num_named_barrier, 0
	.set _ZN9rocsparseL17doti_kernel_part2ILj256E21rocsparse_complex_numIfEEEvPT0_S4_.private_seg_size, 0
	.set _ZN9rocsparseL17doti_kernel_part2ILj256E21rocsparse_complex_numIfEEEvPT0_S4_.uses_vcc, 1
	.set _ZN9rocsparseL17doti_kernel_part2ILj256E21rocsparse_complex_numIfEEEvPT0_S4_.uses_flat_scratch, 0
	.set _ZN9rocsparseL17doti_kernel_part2ILj256E21rocsparse_complex_numIfEEEvPT0_S4_.has_dyn_sized_stack, 0
	.set _ZN9rocsparseL17doti_kernel_part2ILj256E21rocsparse_complex_numIfEEEvPT0_S4_.has_recursion, 0
	.set _ZN9rocsparseL17doti_kernel_part2ILj256E21rocsparse_complex_numIfEEEvPT0_S4_.has_indirect_call, 0
	.section	.AMDGPU.csdata,"",@progbits
; Kernel info:
; codeLenInByte = 516
; TotalNumSgprs: 12
; NumVgprs: 6
; NumAgprs: 0
; TotalNumVgprs: 6
; ScratchSize: 0
; MemoryBound: 0
; FloatMode: 240
; IeeeMode: 1
; LDSByteSize: 2048 bytes/workgroup (compile time only)
; SGPRBlocks: 1
; VGPRBlocks: 0
; NumSGPRsForWavesPerEU: 12
; NumVGPRsForWavesPerEU: 6
; AccumOffset: 8
; Occupancy: 8
; WaveLimiterHint : 0
; COMPUTE_PGM_RSRC2:SCRATCH_EN: 0
; COMPUTE_PGM_RSRC2:USER_SGPR: 2
; COMPUTE_PGM_RSRC2:TRAP_HANDLER: 0
; COMPUTE_PGM_RSRC2:TGID_X_EN: 1
; COMPUTE_PGM_RSRC2:TGID_Y_EN: 0
; COMPUTE_PGM_RSRC2:TGID_Z_EN: 0
; COMPUTE_PGM_RSRC2:TIDIG_COMP_CNT: 0
; COMPUTE_PGM_RSRC3_GFX90A:ACCUM_OFFSET: 1
; COMPUTE_PGM_RSRC3_GFX90A:TG_SPLIT: 0
	.section	.text._ZN9rocsparseL17doti_kernel_part1ILj256ELj2El21rocsparse_complex_numIfES2_S2_EEvT1_PKT2_PKS3_PKT3_PT4_21rocsparse_index_base_,"axG",@progbits,_ZN9rocsparseL17doti_kernel_part1ILj256ELj2El21rocsparse_complex_numIfES2_S2_EEvT1_PKT2_PKS3_PKT3_PT4_21rocsparse_index_base_,comdat
	.globl	_ZN9rocsparseL17doti_kernel_part1ILj256ELj2El21rocsparse_complex_numIfES2_S2_EEvT1_PKT2_PKS3_PKT3_PT4_21rocsparse_index_base_ ; -- Begin function _ZN9rocsparseL17doti_kernel_part1ILj256ELj2El21rocsparse_complex_numIfES2_S2_EEvT1_PKT2_PKS3_PKT3_PT4_21rocsparse_index_base_
	.p2align	8
	.type	_ZN9rocsparseL17doti_kernel_part1ILj256ELj2El21rocsparse_complex_numIfES2_S2_EEvT1_PKT2_PKS3_PKT3_PT4_21rocsparse_index_base_,@function
_ZN9rocsparseL17doti_kernel_part1ILj256ELj2El21rocsparse_complex_numIfES2_S2_EEvT1_PKT2_PKS3_PKT3_PT4_21rocsparse_index_base_: ; @_ZN9rocsparseL17doti_kernel_part1ILj256ELj2El21rocsparse_complex_numIfES2_S2_EEvT1_PKT2_PKS3_PKT3_PT4_21rocsparse_index_base_
; %bb.0:
	s_load_dwordx8 s[4:11], s[0:1], 0x0
	s_load_dwordx2 s[12:13], s[0:1], 0x20
	s_load_dword s3, s[0:1], 0x28
	s_load_dword s20, s[0:1], 0x30
	s_mov_b32 s1, 0
	s_lshl_b32 s14, s2, 8
	v_or_b32_e32 v1, s14, v0
	v_mov_b32_e32 v2, 0
	s_waitcnt lgkmcnt(0)
	s_lshl_b32 s0, s20, 9
	v_mov_b64_e32 v[4:5], s[0:1]
	v_cmp_le_i64_e32 vcc, s[4:5], v[4:5]
	s_cbranch_vccnz .LBB8_3
; %bb.1:
	s_lshl_b64 s[16:17], s[0:1], 3
	v_add_u32_e32 v4, s14, v1
	v_mov_b32_e32 v5, v2
	s_add_u32 s18, s8, 0x800
	v_lshlrev_b64 v[4:5], 3, v[4:5]
	s_addc_u32 s19, s9, 0
	v_mov_b64_e32 v[6:7], s[4:5]
	s_mov_b64 s[14:15], s[0:1]
	v_mov_b32_e32 v3, v2
.LBB8_2:                                ; =>This Inner Loop Header: Depth=1
	v_lshl_add_u64 v[8:9], s[18:19], 0, v[4:5]
	global_load_dwordx2 v[10:11], v[8:9], off offset:-2048
	global_load_dwordx2 v[12:13], v[8:9], off
	v_lshl_add_u64 v[8:9], s[6:7], 0, v[4:5]
	global_load_dwordx2 v[14:15], v[8:9], off
	global_load_dwordx2 v[16:17], v[8:9], off offset:2048
	s_add_u32 s14, s14, s0
	s_addc_u32 s15, s15, 0
	v_lshl_add_u64 v[4:5], v[4:5], 0, s[16:17]
	s_waitcnt vmcnt(3)
	v_subrev_co_u32_e32 v8, vcc, s3, v10
	s_nop 1
	v_subbrev_co_u32_e32 v9, vcc, 0, v11, vcc
	s_waitcnt vmcnt(2)
	v_subrev_co_u32_e32 v10, vcc, s3, v12
	v_lshl_add_u64 v[8:9], v[8:9], 3, s[10:11]
	s_nop 0
	v_subbrev_co_u32_e32 v11, vcc, 0, v13, vcc
	v_lshl_add_u64 v[10:11], v[10:11], 3, s[10:11]
	global_load_dwordx2 v[12:13], v[8:9], off
	global_load_dwordx2 v[18:19], v[10:11], off
	v_cmp_lt_i64_e32 vcc, s[14:15], v[6:7]
	s_and_b64 vcc, exec, vcc
	s_waitcnt vmcnt(1)
	v_xor_b32_e32 v8, 0x80000000, v13
	v_pk_fma_f32 v[2:3], v[12:13], v[14:15], v[2:3] op_sel_hi:[1,0,1]
	v_mov_b32_e32 v9, v12
	v_pk_fma_f32 v[2:3], v[8:9], v[14:15], v[2:3] op_sel:[0,1,0]
	s_waitcnt vmcnt(0)
	v_xor_b32_e32 v10, 0x80000000, v19
	v_mov_b32_e32 v11, v18
	v_pk_fma_f32 v[2:3], v[18:19], v[16:17], v[2:3] op_sel_hi:[1,0,1]
	s_nop 0
	v_pk_fma_f32 v[2:3], v[10:11], v[16:17], v[2:3] op_sel:[0,1,0]
	s_cbranch_vccnz .LBB8_2
	s_branch .LBB8_4
.LBB8_3:
	v_mov_b32_e32 v2, 0
	v_mov_b32_e32 v3, v2
	s_mov_b64 s[14:15], s[0:1]
.LBB8_4:
	v_subrev_co_u32_e32 v4, vcc, s0, v1
	s_nop 1
	v_subb_co_u32_e64 v5, s[0:1], 0, 0, vcc
	v_lshl_add_u64 v[4:5], v[4:5], 0, s[14:15]
	v_cmp_gt_i64_e32 vcc, s[4:5], v[4:5]
	s_and_saveexec_b64 s[0:1], vcc
	s_cbranch_execz .LBB8_8
; %bb.5:
	s_mov_b32 s15, 0
	s_lshl_b32 s14, s20, 8
	s_lshl_b64 s[16:17], s[14:15], 3
	s_add_u32 s6, s6, 4
	v_lshlrev_b64 v[6:7], 3, v[4:5]
	s_addc_u32 s7, s7, 0
	s_mov_b64 s[18:19], 0
.LBB8_6:                                ; =>This Inner Loop Header: Depth=1
	v_lshl_add_u64 v[8:9], s[8:9], 0, v[6:7]
	global_load_dwordx2 v[8:9], v[8:9], off
	v_lshl_add_u64 v[10:11], s[6:7], 0, v[6:7]
	global_load_dwordx2 v[10:11], v[10:11], off offset:-4
	v_lshl_add_u64 v[4:5], v[4:5], 0, s[14:15]
	v_lshl_add_u64 v[6:7], v[6:7], 0, s[16:17]
	s_waitcnt vmcnt(1)
	v_subrev_co_u32_e32 v8, vcc, s3, v8
	s_nop 1
	v_subbrev_co_u32_e32 v9, vcc, 0, v9, vcc
	v_lshl_add_u64 v[8:9], v[8:9], 3, s[10:11]
	global_load_dwordx2 v[8:9], v[8:9], off
	v_cmp_le_i64_e32 vcc, s[4:5], v[4:5]
	s_or_b64 s[18:19], vcc, s[18:19]
	s_waitcnt vmcnt(0)
	v_xor_b32_e32 v12, 0x80000000, v9
	v_pk_fma_f32 v[2:3], v[8:9], v[10:11], v[2:3] op_sel_hi:[1,0,1]
	v_mov_b32_e32 v13, v8
	v_pk_fma_f32 v[2:3], v[12:13], v[10:11], v[2:3] op_sel:[0,1,0]
	s_andn2_b64 exec, exec, s[18:19]
	s_cbranch_execnz .LBB8_6
; %bb.7:
	s_or_b64 exec, exec, s[18:19]
.LBB8_8:
	s_or_b64 exec, exec, s[0:1]
	s_movk_i32 s0, 0x80
	v_lshlrev_b32_e32 v1, 3, v0
	v_cmp_gt_u32_e32 vcc, s0, v0
	ds_write_b64 v1, v[2:3]
	s_waitcnt lgkmcnt(0)
	s_barrier
	s_and_saveexec_b64 s[0:1], vcc
	s_cbranch_execz .LBB8_10
; %bb.9:
	ds_read2st64_b64 v[2:5], v1 offset1:2
	s_waitcnt lgkmcnt(0)
	v_pk_add_f32 v[2:3], v[4:5], v[2:3]
	ds_write_b64 v1, v[2:3]
.LBB8_10:
	s_or_b64 exec, exec, s[0:1]
	v_cmp_gt_u32_e32 vcc, 64, v0
	s_waitcnt lgkmcnt(0)
	s_barrier
	s_and_saveexec_b64 s[0:1], vcc
	s_cbranch_execz .LBB8_12
; %bb.11:
	ds_read2st64_b64 v[2:5], v1 offset1:1
	s_waitcnt lgkmcnt(0)
	v_pk_add_f32 v[2:3], v[4:5], v[2:3]
	ds_write_b64 v1, v[2:3]
.LBB8_12:
	s_or_b64 exec, exec, s[0:1]
	v_cmp_gt_u32_e32 vcc, 32, v0
	s_waitcnt lgkmcnt(0)
	s_barrier
	s_and_saveexec_b64 s[0:1], vcc
	s_cbranch_execz .LBB8_14
; %bb.13:
	ds_read2_b64 v[2:5], v1 offset1:32
	s_waitcnt lgkmcnt(0)
	v_pk_add_f32 v[2:3], v[4:5], v[2:3]
	ds_write_b64 v1, v[2:3]
.LBB8_14:
	s_or_b64 exec, exec, s[0:1]
	v_cmp_gt_u32_e32 vcc, 16, v0
	s_waitcnt lgkmcnt(0)
	s_barrier
	s_and_saveexec_b64 s[0:1], vcc
	s_cbranch_execz .LBB8_16
; %bb.15:
	ds_read2_b64 v[2:5], v1 offset1:16
	s_waitcnt lgkmcnt(0)
	v_pk_add_f32 v[2:3], v[4:5], v[2:3]
	ds_write_b64 v1, v[2:3]
.LBB8_16:
	;; [unrolled: 12-line block ×5, first 2 shown]
	s_or_b64 exec, exec, s[0:1]
	v_cmp_eq_u32_e32 vcc, 0, v0
	s_waitcnt lgkmcnt(0)
	s_barrier
	s_and_saveexec_b64 s[0:1], vcc
	s_cbranch_execz .LBB8_24
; %bb.23:
	v_mov_b32_e32 v4, 0
	ds_read2_b64 v[0:3], v4 offset1:1
	s_waitcnt lgkmcnt(0)
	v_pk_add_f32 v[0:1], v[2:3], v[0:1]
	ds_write_b64 v4, v[0:1]
.LBB8_24:
	s_or_b64 exec, exec, s[0:1]
	s_waitcnt lgkmcnt(0)
	s_barrier
	s_and_saveexec_b64 s[0:1], vcc
	s_cbranch_execz .LBB8_26
; %bb.25:
	v_mov_b32_e32 v2, 0
	ds_read_b64 v[0:1], v2
	s_mov_b32 s3, 0
	s_lshl_b64 s[0:1], s[2:3], 3
	s_add_u32 s0, s12, s0
	s_addc_u32 s1, s13, s1
	s_waitcnt lgkmcnt(0)
	global_store_dwordx2 v2, v[0:1], s[0:1]
.LBB8_26:
	s_endpgm
	.section	.rodata,"a",@progbits
	.p2align	6, 0x0
	.amdhsa_kernel _ZN9rocsparseL17doti_kernel_part1ILj256ELj2El21rocsparse_complex_numIfES2_S2_EEvT1_PKT2_PKS3_PKT3_PT4_21rocsparse_index_base_
		.amdhsa_group_segment_fixed_size 2048
		.amdhsa_private_segment_fixed_size 0
		.amdhsa_kernarg_size 304
		.amdhsa_user_sgpr_count 2
		.amdhsa_user_sgpr_dispatch_ptr 0
		.amdhsa_user_sgpr_queue_ptr 0
		.amdhsa_user_sgpr_kernarg_segment_ptr 1
		.amdhsa_user_sgpr_dispatch_id 0
		.amdhsa_user_sgpr_kernarg_preload_length 0
		.amdhsa_user_sgpr_kernarg_preload_offset 0
		.amdhsa_user_sgpr_private_segment_size 0
		.amdhsa_uses_dynamic_stack 0
		.amdhsa_enable_private_segment 0
		.amdhsa_system_sgpr_workgroup_id_x 1
		.amdhsa_system_sgpr_workgroup_id_y 0
		.amdhsa_system_sgpr_workgroup_id_z 0
		.amdhsa_system_sgpr_workgroup_info 0
		.amdhsa_system_vgpr_workitem_id 0
		.amdhsa_next_free_vgpr 20
		.amdhsa_next_free_sgpr 21
		.amdhsa_accum_offset 20
		.amdhsa_reserve_vcc 1
		.amdhsa_float_round_mode_32 0
		.amdhsa_float_round_mode_16_64 0
		.amdhsa_float_denorm_mode_32 3
		.amdhsa_float_denorm_mode_16_64 3
		.amdhsa_dx10_clamp 1
		.amdhsa_ieee_mode 1
		.amdhsa_fp16_overflow 0
		.amdhsa_tg_split 0
		.amdhsa_exception_fp_ieee_invalid_op 0
		.amdhsa_exception_fp_denorm_src 0
		.amdhsa_exception_fp_ieee_div_zero 0
		.amdhsa_exception_fp_ieee_overflow 0
		.amdhsa_exception_fp_ieee_underflow 0
		.amdhsa_exception_fp_ieee_inexact 0
		.amdhsa_exception_int_div_zero 0
	.end_amdhsa_kernel
	.section	.text._ZN9rocsparseL17doti_kernel_part1ILj256ELj2El21rocsparse_complex_numIfES2_S2_EEvT1_PKT2_PKS3_PKT3_PT4_21rocsparse_index_base_,"axG",@progbits,_ZN9rocsparseL17doti_kernel_part1ILj256ELj2El21rocsparse_complex_numIfES2_S2_EEvT1_PKT2_PKS3_PKT3_PT4_21rocsparse_index_base_,comdat
.Lfunc_end8:
	.size	_ZN9rocsparseL17doti_kernel_part1ILj256ELj2El21rocsparse_complex_numIfES2_S2_EEvT1_PKT2_PKS3_PKT3_PT4_21rocsparse_index_base_, .Lfunc_end8-_ZN9rocsparseL17doti_kernel_part1ILj256ELj2El21rocsparse_complex_numIfES2_S2_EEvT1_PKT2_PKS3_PKT3_PT4_21rocsparse_index_base_
                                        ; -- End function
	.set _ZN9rocsparseL17doti_kernel_part1ILj256ELj2El21rocsparse_complex_numIfES2_S2_EEvT1_PKT2_PKS3_PKT3_PT4_21rocsparse_index_base_.num_vgpr, 20
	.set _ZN9rocsparseL17doti_kernel_part1ILj256ELj2El21rocsparse_complex_numIfES2_S2_EEvT1_PKT2_PKS3_PKT3_PT4_21rocsparse_index_base_.num_agpr, 0
	.set _ZN9rocsparseL17doti_kernel_part1ILj256ELj2El21rocsparse_complex_numIfES2_S2_EEvT1_PKT2_PKS3_PKT3_PT4_21rocsparse_index_base_.numbered_sgpr, 21
	.set _ZN9rocsparseL17doti_kernel_part1ILj256ELj2El21rocsparse_complex_numIfES2_S2_EEvT1_PKT2_PKS3_PKT3_PT4_21rocsparse_index_base_.num_named_barrier, 0
	.set _ZN9rocsparseL17doti_kernel_part1ILj256ELj2El21rocsparse_complex_numIfES2_S2_EEvT1_PKT2_PKS3_PKT3_PT4_21rocsparse_index_base_.private_seg_size, 0
	.set _ZN9rocsparseL17doti_kernel_part1ILj256ELj2El21rocsparse_complex_numIfES2_S2_EEvT1_PKT2_PKS3_PKT3_PT4_21rocsparse_index_base_.uses_vcc, 1
	.set _ZN9rocsparseL17doti_kernel_part1ILj256ELj2El21rocsparse_complex_numIfES2_S2_EEvT1_PKT2_PKS3_PKT3_PT4_21rocsparse_index_base_.uses_flat_scratch, 0
	.set _ZN9rocsparseL17doti_kernel_part1ILj256ELj2El21rocsparse_complex_numIfES2_S2_EEvT1_PKT2_PKS3_PKT3_PT4_21rocsparse_index_base_.has_dyn_sized_stack, 0
	.set _ZN9rocsparseL17doti_kernel_part1ILj256ELj2El21rocsparse_complex_numIfES2_S2_EEvT1_PKT2_PKS3_PKT3_PT4_21rocsparse_index_base_.has_recursion, 0
	.set _ZN9rocsparseL17doti_kernel_part1ILj256ELj2El21rocsparse_complex_numIfES2_S2_EEvT1_PKT2_PKS3_PKT3_PT4_21rocsparse_index_base_.has_indirect_call, 0
	.section	.AMDGPU.csdata,"",@progbits
; Kernel info:
; codeLenInByte = 1036
; TotalNumSgprs: 27
; NumVgprs: 20
; NumAgprs: 0
; TotalNumVgprs: 20
; ScratchSize: 0
; MemoryBound: 0
; FloatMode: 240
; IeeeMode: 1
; LDSByteSize: 2048 bytes/workgroup (compile time only)
; SGPRBlocks: 3
; VGPRBlocks: 2
; NumSGPRsForWavesPerEU: 27
; NumVGPRsForWavesPerEU: 20
; AccumOffset: 20
; Occupancy: 8
; WaveLimiterHint : 1
; COMPUTE_PGM_RSRC2:SCRATCH_EN: 0
; COMPUTE_PGM_RSRC2:USER_SGPR: 2
; COMPUTE_PGM_RSRC2:TRAP_HANDLER: 0
; COMPUTE_PGM_RSRC2:TGID_X_EN: 1
; COMPUTE_PGM_RSRC2:TGID_Y_EN: 0
; COMPUTE_PGM_RSRC2:TGID_Z_EN: 0
; COMPUTE_PGM_RSRC2:TIDIG_COMP_CNT: 0
; COMPUTE_PGM_RSRC3_GFX90A:ACCUM_OFFSET: 4
; COMPUTE_PGM_RSRC3_GFX90A:TG_SPLIT: 0
	.section	.text._ZN9rocsparseL17doti_kernel_part1ILj256ELj2Ei21rocsparse_complex_numIdES2_S2_EEvT1_PKT2_PKS3_PKT3_PT4_21rocsparse_index_base_,"axG",@progbits,_ZN9rocsparseL17doti_kernel_part1ILj256ELj2Ei21rocsparse_complex_numIdES2_S2_EEvT1_PKT2_PKS3_PKT3_PT4_21rocsparse_index_base_,comdat
	.globl	_ZN9rocsparseL17doti_kernel_part1ILj256ELj2Ei21rocsparse_complex_numIdES2_S2_EEvT1_PKT2_PKS3_PKT3_PT4_21rocsparse_index_base_ ; -- Begin function _ZN9rocsparseL17doti_kernel_part1ILj256ELj2Ei21rocsparse_complex_numIdES2_S2_EEvT1_PKT2_PKS3_PKT3_PT4_21rocsparse_index_base_
	.p2align	8
	.type	_ZN9rocsparseL17doti_kernel_part1ILj256ELj2Ei21rocsparse_complex_numIdES2_S2_EEvT1_PKT2_PKS3_PKT3_PT4_21rocsparse_index_base_,@function
_ZN9rocsparseL17doti_kernel_part1ILj256ELj2Ei21rocsparse_complex_numIdES2_S2_EEvT1_PKT2_PKS3_PKT3_PT4_21rocsparse_index_base_: ; @_ZN9rocsparseL17doti_kernel_part1ILj256ELj2Ei21rocsparse_complex_numIdES2_S2_EEvT1_PKT2_PKS3_PKT3_PT4_21rocsparse_index_base_
; %bb.0:
	s_load_dword s12, s[0:1], 0x30
	s_load_dword s3, s[0:1], 0x28
	;; [unrolled: 1-line block ×3, first 2 shown]
	s_load_dwordx8 s[4:11], s[0:1], 0x8
	v_mov_b64_e32 v[2:3], 0
	s_waitcnt lgkmcnt(0)
	s_lshl_b32 s0, s12, 9
	s_mov_b32 s13, s0
	s_cmp_ge_i32 s0, s14
	v_mov_b64_e32 v[4:5], v[2:3]
	s_cbranch_scc1 .LBB9_3
; %bb.1:
	v_mov_b64_e32 v[2:3], 0
	v_lshl_or_b32 v1, s2, 9, v0
	s_mov_b32 s1, 0
	v_mov_b32_e32 v7, 0
	v_mov_b64_e32 v[4:5], v[2:3]
.LBB9_2:                                ; =>This Inner Loop Header: Depth=1
	v_add_u32_e32 v6, s1, v1
	v_lshl_add_u64 v[8:9], v[6:7], 2, s[6:7]
	global_load_dword v16, v[8:9], off
	v_lshl_add_u64 v[12:13], v[6:7], 4, s[4:5]
	v_add_u32_e32 v6, 0x100, v6
	v_lshl_add_u64 v[14:15], v[6:7], 2, s[6:7]
	global_load_dword v18, v[14:15], off
	global_load_dwordx4 v[8:11], v[12:13], off
	v_lshl_add_u64 v[12:13], v[6:7], 4, s[4:5]
	global_load_dwordx4 v[12:15], v[12:13], off
	s_add_i32 s1, s1, s0
	s_add_i32 s13, s0, s1
	s_cmp_lt_i32 s13, s14
	s_waitcnt vmcnt(3)
	v_subrev_u32_e32 v16, s3, v16
	v_ashrrev_i32_e32 v17, 31, v16
	v_lshl_add_u64 v[16:17], v[16:17], 4, s[8:9]
	s_waitcnt vmcnt(2)
	v_subrev_u32_e32 v20, s3, v18
	v_ashrrev_i32_e32 v21, 31, v20
	global_load_dwordx4 v[16:19], v[16:17], off
	v_lshl_add_u64 v[20:21], v[20:21], 4, s[8:9]
	global_load_dwordx4 v[20:23], v[20:21], off
	s_waitcnt vmcnt(1)
	v_fmac_f64_e32 v[2:3], v[16:17], v[8:9]
	v_fmac_f64_e32 v[4:5], v[18:19], v[8:9]
	v_fma_f64 v[2:3], -v[18:19], v[10:11], v[2:3]
	v_fmac_f64_e32 v[4:5], v[16:17], v[10:11]
	s_waitcnt vmcnt(0)
	v_fmac_f64_e32 v[2:3], v[20:21], v[12:13]
	v_fmac_f64_e32 v[4:5], v[22:23], v[12:13]
	v_fma_f64 v[2:3], -v[22:23], v[14:15], v[2:3]
	v_fmac_f64_e32 v[4:5], v[20:21], v[14:15]
	s_cbranch_scc1 .LBB9_2
.LBB9_3:
	v_lshl_or_b32 v1, s2, 8, v0
	v_subrev_u32_e32 v1, s0, v1
	v_add_u32_e32 v6, s13, v1
	v_cmp_gt_i32_e32 vcc, s14, v6
	s_and_saveexec_b64 s[0:1], vcc
	s_cbranch_execz .LBB9_7
; %bb.4:
	s_lshl_b32 s15, s12, 8
	s_mov_b64 s[12:13], 0
.LBB9_5:                                ; =>This Inner Loop Header: Depth=1
	v_ashrrev_i32_e32 v7, 31, v6
	v_lshl_add_u64 v[8:9], v[6:7], 2, s[6:7]
	global_load_dword v1, v[8:9], off
	v_lshl_add_u64 v[8:9], v[6:7], 4, s[4:5]
	global_load_dwordx4 v[8:11], v[8:9], off
	v_add_u32_e32 v6, s15, v6
	v_cmp_le_i32_e32 vcc, s14, v6
	s_or_b64 s[12:13], vcc, s[12:13]
	s_waitcnt vmcnt(1)
	v_subrev_u32_e32 v12, s3, v1
	v_ashrrev_i32_e32 v13, 31, v12
	v_lshl_add_u64 v[12:13], v[12:13], 4, s[8:9]
	global_load_dwordx4 v[12:15], v[12:13], off
	s_waitcnt vmcnt(0)
	v_fmac_f64_e32 v[2:3], v[12:13], v[8:9]
	v_fmac_f64_e32 v[4:5], v[14:15], v[8:9]
	v_fma_f64 v[2:3], -v[14:15], v[10:11], v[2:3]
	v_fmac_f64_e32 v[4:5], v[12:13], v[10:11]
	s_andn2_b64 exec, exec, s[12:13]
	s_cbranch_execnz .LBB9_5
; %bb.6:
	s_or_b64 exec, exec, s[12:13]
.LBB9_7:
	s_or_b64 exec, exec, s[0:1]
	s_movk_i32 s0, 0x80
	v_lshlrev_b32_e32 v1, 4, v0
	v_cmp_gt_u32_e32 vcc, s0, v0
	ds_write_b128 v1, v[2:5]
	s_waitcnt lgkmcnt(0)
	s_barrier
	s_and_saveexec_b64 s[0:1], vcc
	s_cbranch_execz .LBB9_9
; %bb.8:
	ds_read_b128 v[2:5], v1 offset:2048
	ds_read_b128 v[6:9], v1
	s_waitcnt lgkmcnt(0)
	v_add_f64 v[2:3], v[2:3], v[6:7]
	v_add_f64 v[4:5], v[4:5], v[8:9]
	ds_write_b128 v1, v[2:5]
.LBB9_9:
	s_or_b64 exec, exec, s[0:1]
	v_cmp_gt_u32_e32 vcc, 64, v0
	s_waitcnt lgkmcnt(0)
	s_barrier
	s_and_saveexec_b64 s[0:1], vcc
	s_cbranch_execz .LBB9_11
; %bb.10:
	ds_read_b128 v[2:5], v1 offset:1024
	ds_read_b128 v[6:9], v1
	s_waitcnt lgkmcnt(0)
	v_add_f64 v[2:3], v[2:3], v[6:7]
	v_add_f64 v[4:5], v[4:5], v[8:9]
	ds_write_b128 v1, v[2:5]
.LBB9_11:
	s_or_b64 exec, exec, s[0:1]
	v_cmp_gt_u32_e32 vcc, 32, v0
	;; [unrolled: 14-line block ×6, first 2 shown]
	s_waitcnt lgkmcnt(0)
	s_barrier
	s_and_saveexec_b64 s[0:1], vcc
	s_cbranch_execz .LBB9_21
; %bb.20:
	ds_read_b128 v[2:5], v1
	ds_read_b128 v[6:9], v1 offset:32
	s_waitcnt lgkmcnt(0)
	v_add_f64 v[2:3], v[6:7], v[2:3]
	v_add_f64 v[4:5], v[8:9], v[4:5]
	ds_write_b128 v1, v[2:5]
.LBB9_21:
	s_or_b64 exec, exec, s[0:1]
	v_cmp_eq_u32_e32 vcc, 0, v0
	s_waitcnt lgkmcnt(0)
	s_barrier
	s_and_saveexec_b64 s[0:1], vcc
	s_cbranch_execz .LBB9_23
; %bb.22:
	v_mov_b32_e32 v8, 0
	ds_read_b128 v[0:3], v8
	ds_read_b128 v[4:7], v8 offset:16
	s_waitcnt lgkmcnt(0)
	v_add_f64 v[0:1], v[4:5], v[0:1]
	v_add_f64 v[2:3], v[6:7], v[2:3]
	ds_write_b128 v8, v[0:3]
.LBB9_23:
	s_or_b64 exec, exec, s[0:1]
	s_waitcnt lgkmcnt(0)
	s_barrier
	s_and_saveexec_b64 s[0:1], vcc
	s_cbranch_execz .LBB9_25
; %bb.24:
	v_mov_b32_e32 v4, 0
	ds_read_b128 v[0:3], v4
	s_mov_b32 s3, 0
	s_lshl_b64 s[0:1], s[2:3], 4
	s_add_u32 s0, s10, s0
	s_addc_u32 s1, s11, s1
	s_waitcnt lgkmcnt(0)
	global_store_dwordx4 v4, v[0:3], s[0:1]
.LBB9_25:
	s_endpgm
	.section	.rodata,"a",@progbits
	.p2align	6, 0x0
	.amdhsa_kernel _ZN9rocsparseL17doti_kernel_part1ILj256ELj2Ei21rocsparse_complex_numIdES2_S2_EEvT1_PKT2_PKS3_PKT3_PT4_21rocsparse_index_base_
		.amdhsa_group_segment_fixed_size 4096
		.amdhsa_private_segment_fixed_size 0
		.amdhsa_kernarg_size 304
		.amdhsa_user_sgpr_count 2
		.amdhsa_user_sgpr_dispatch_ptr 0
		.amdhsa_user_sgpr_queue_ptr 0
		.amdhsa_user_sgpr_kernarg_segment_ptr 1
		.amdhsa_user_sgpr_dispatch_id 0
		.amdhsa_user_sgpr_kernarg_preload_length 0
		.amdhsa_user_sgpr_kernarg_preload_offset 0
		.amdhsa_user_sgpr_private_segment_size 0
		.amdhsa_uses_dynamic_stack 0
		.amdhsa_enable_private_segment 0
		.amdhsa_system_sgpr_workgroup_id_x 1
		.amdhsa_system_sgpr_workgroup_id_y 0
		.amdhsa_system_sgpr_workgroup_id_z 0
		.amdhsa_system_sgpr_workgroup_info 0
		.amdhsa_system_vgpr_workitem_id 0
		.amdhsa_next_free_vgpr 24
		.amdhsa_next_free_sgpr 16
		.amdhsa_accum_offset 24
		.amdhsa_reserve_vcc 1
		.amdhsa_float_round_mode_32 0
		.amdhsa_float_round_mode_16_64 0
		.amdhsa_float_denorm_mode_32 3
		.amdhsa_float_denorm_mode_16_64 3
		.amdhsa_dx10_clamp 1
		.amdhsa_ieee_mode 1
		.amdhsa_fp16_overflow 0
		.amdhsa_tg_split 0
		.amdhsa_exception_fp_ieee_invalid_op 0
		.amdhsa_exception_fp_denorm_src 0
		.amdhsa_exception_fp_ieee_div_zero 0
		.amdhsa_exception_fp_ieee_overflow 0
		.amdhsa_exception_fp_ieee_underflow 0
		.amdhsa_exception_fp_ieee_inexact 0
		.amdhsa_exception_int_div_zero 0
	.end_amdhsa_kernel
	.section	.text._ZN9rocsparseL17doti_kernel_part1ILj256ELj2Ei21rocsparse_complex_numIdES2_S2_EEvT1_PKT2_PKS3_PKT3_PT4_21rocsparse_index_base_,"axG",@progbits,_ZN9rocsparseL17doti_kernel_part1ILj256ELj2Ei21rocsparse_complex_numIdES2_S2_EEvT1_PKT2_PKS3_PKT3_PT4_21rocsparse_index_base_,comdat
.Lfunc_end9:
	.size	_ZN9rocsparseL17doti_kernel_part1ILj256ELj2Ei21rocsparse_complex_numIdES2_S2_EEvT1_PKT2_PKS3_PKT3_PT4_21rocsparse_index_base_, .Lfunc_end9-_ZN9rocsparseL17doti_kernel_part1ILj256ELj2Ei21rocsparse_complex_numIdES2_S2_EEvT1_PKT2_PKS3_PKT3_PT4_21rocsparse_index_base_
                                        ; -- End function
	.set _ZN9rocsparseL17doti_kernel_part1ILj256ELj2Ei21rocsparse_complex_numIdES2_S2_EEvT1_PKT2_PKS3_PKT3_PT4_21rocsparse_index_base_.num_vgpr, 24
	.set _ZN9rocsparseL17doti_kernel_part1ILj256ELj2Ei21rocsparse_complex_numIdES2_S2_EEvT1_PKT2_PKS3_PKT3_PT4_21rocsparse_index_base_.num_agpr, 0
	.set _ZN9rocsparseL17doti_kernel_part1ILj256ELj2Ei21rocsparse_complex_numIdES2_S2_EEvT1_PKT2_PKS3_PKT3_PT4_21rocsparse_index_base_.numbered_sgpr, 16
	.set _ZN9rocsparseL17doti_kernel_part1ILj256ELj2Ei21rocsparse_complex_numIdES2_S2_EEvT1_PKT2_PKS3_PKT3_PT4_21rocsparse_index_base_.num_named_barrier, 0
	.set _ZN9rocsparseL17doti_kernel_part1ILj256ELj2Ei21rocsparse_complex_numIdES2_S2_EEvT1_PKT2_PKS3_PKT3_PT4_21rocsparse_index_base_.private_seg_size, 0
	.set _ZN9rocsparseL17doti_kernel_part1ILj256ELj2Ei21rocsparse_complex_numIdES2_S2_EEvT1_PKT2_PKS3_PKT3_PT4_21rocsparse_index_base_.uses_vcc, 1
	.set _ZN9rocsparseL17doti_kernel_part1ILj256ELj2Ei21rocsparse_complex_numIdES2_S2_EEvT1_PKT2_PKS3_PKT3_PT4_21rocsparse_index_base_.uses_flat_scratch, 0
	.set _ZN9rocsparseL17doti_kernel_part1ILj256ELj2Ei21rocsparse_complex_numIdES2_S2_EEvT1_PKT2_PKS3_PKT3_PT4_21rocsparse_index_base_.has_dyn_sized_stack, 0
	.set _ZN9rocsparseL17doti_kernel_part1ILj256ELj2Ei21rocsparse_complex_numIdES2_S2_EEvT1_PKT2_PKS3_PKT3_PT4_21rocsparse_index_base_.has_recursion, 0
	.set _ZN9rocsparseL17doti_kernel_part1ILj256ELj2Ei21rocsparse_complex_numIdES2_S2_EEvT1_PKT2_PKS3_PKT3_PT4_21rocsparse_index_base_.has_indirect_call, 0
	.section	.AMDGPU.csdata,"",@progbits
; Kernel info:
; codeLenInByte = 1056
; TotalNumSgprs: 22
; NumVgprs: 24
; NumAgprs: 0
; TotalNumVgprs: 24
; ScratchSize: 0
; MemoryBound: 0
; FloatMode: 240
; IeeeMode: 1
; LDSByteSize: 4096 bytes/workgroup (compile time only)
; SGPRBlocks: 2
; VGPRBlocks: 2
; NumSGPRsForWavesPerEU: 22
; NumVGPRsForWavesPerEU: 24
; AccumOffset: 24
; Occupancy: 8
; WaveLimiterHint : 1
; COMPUTE_PGM_RSRC2:SCRATCH_EN: 0
; COMPUTE_PGM_RSRC2:USER_SGPR: 2
; COMPUTE_PGM_RSRC2:TRAP_HANDLER: 0
; COMPUTE_PGM_RSRC2:TGID_X_EN: 1
; COMPUTE_PGM_RSRC2:TGID_Y_EN: 0
; COMPUTE_PGM_RSRC2:TGID_Z_EN: 0
; COMPUTE_PGM_RSRC2:TIDIG_COMP_CNT: 0
; COMPUTE_PGM_RSRC3_GFX90A:ACCUM_OFFSET: 5
; COMPUTE_PGM_RSRC3_GFX90A:TG_SPLIT: 0
	.section	.text._ZN9rocsparseL17doti_kernel_part2ILj256E21rocsparse_complex_numIdEEEvPT0_S4_,"axG",@progbits,_ZN9rocsparseL17doti_kernel_part2ILj256E21rocsparse_complex_numIdEEEvPT0_S4_,comdat
	.globl	_ZN9rocsparseL17doti_kernel_part2ILj256E21rocsparse_complex_numIdEEEvPT0_S4_ ; -- Begin function _ZN9rocsparseL17doti_kernel_part2ILj256E21rocsparse_complex_numIdEEEvPT0_S4_
	.p2align	8
	.type	_ZN9rocsparseL17doti_kernel_part2ILj256E21rocsparse_complex_numIdEEEvPT0_S4_,@function
_ZN9rocsparseL17doti_kernel_part2ILj256E21rocsparse_complex_numIdEEEvPT0_S4_: ; @_ZN9rocsparseL17doti_kernel_part2ILj256E21rocsparse_complex_numIdEEEvPT0_S4_
; %bb.0:
	s_load_dwordx4 s[0:3], s[0:1], 0x0
	v_lshlrev_b32_e32 v1, 4, v0
	s_movk_i32 s4, 0x80
	v_cmp_gt_u32_e32 vcc, s4, v0
	s_waitcnt lgkmcnt(0)
	global_load_dwordx4 v[2:5], v1, s[0:1]
	s_waitcnt vmcnt(0)
	ds_write2_b64 v1, v[2:3], v[4:5] offset1:1
	s_waitcnt lgkmcnt(0)
	s_barrier
	s_and_saveexec_b64 s[4:5], vcc
	s_cbranch_execz .LBB10_2
; %bb.1:
	ds_read_b128 v[2:5], v1 offset:2048
	ds_read_b128 v[6:9], v1
	s_waitcnt lgkmcnt(0)
	v_add_f64 v[2:3], v[2:3], v[6:7]
	v_add_f64 v[4:5], v[4:5], v[8:9]
	ds_write_b128 v1, v[2:5]
.LBB10_2:
	s_or_b64 exec, exec, s[4:5]
	v_cmp_gt_u32_e32 vcc, 64, v0
	s_waitcnt lgkmcnt(0)
	s_barrier
	s_and_saveexec_b64 s[4:5], vcc
	s_cbranch_execz .LBB10_4
; %bb.3:
	ds_read_b128 v[2:5], v1 offset:1024
	ds_read_b128 v[6:9], v1
	s_waitcnt lgkmcnt(0)
	v_add_f64 v[2:3], v[2:3], v[6:7]
	v_add_f64 v[4:5], v[4:5], v[8:9]
	ds_write_b128 v1, v[2:5]
.LBB10_4:
	s_or_b64 exec, exec, s[4:5]
	v_cmp_gt_u32_e32 vcc, 32, v0
	;; [unrolled: 14-line block ×6, first 2 shown]
	s_waitcnt lgkmcnt(0)
	s_barrier
	s_and_saveexec_b64 s[4:5], vcc
	s_cbranch_execz .LBB10_14
; %bb.13:
	ds_read_b128 v[2:5], v1
	ds_read_b128 v[6:9], v1 offset:32
	s_waitcnt lgkmcnt(0)
	v_add_f64 v[2:3], v[6:7], v[2:3]
	v_add_f64 v[4:5], v[8:9], v[4:5]
	ds_write_b128 v1, v[2:5]
.LBB10_14:
	s_or_b64 exec, exec, s[4:5]
	v_cmp_eq_u32_e32 vcc, 0, v0
	s_waitcnt lgkmcnt(0)
	s_barrier
	s_and_saveexec_b64 s[4:5], vcc
	s_cbranch_execz .LBB10_16
; %bb.15:
	v_mov_b32_e32 v8, 0
	ds_read_b128 v[0:3], v8
	ds_read_b128 v[4:7], v8 offset:16
	s_waitcnt lgkmcnt(0)
	v_add_f64 v[0:1], v[4:5], v[0:1]
	v_add_f64 v[2:3], v[6:7], v[2:3]
	ds_write_b128 v8, v[0:3]
.LBB10_16:
	s_or_b64 exec, exec, s[4:5]
	s_waitcnt lgkmcnt(0)
	s_barrier
	s_and_saveexec_b64 s[4:5], vcc
	s_cbranch_execz .LBB10_18
; %bb.17:
	v_mov_b32_e32 v4, 0
	ds_read_b128 v[0:3], v4
	s_cmp_eq_u64 s[2:3], 0
	s_cselect_b32 s1, s1, s3
	s_cselect_b32 s0, s0, s2
	s_waitcnt lgkmcnt(0)
	global_store_dwordx4 v4, v[0:3], s[0:1]
.LBB10_18:
	s_endpgm
	.section	.rodata,"a",@progbits
	.p2align	6, 0x0
	.amdhsa_kernel _ZN9rocsparseL17doti_kernel_part2ILj256E21rocsparse_complex_numIdEEEvPT0_S4_
		.amdhsa_group_segment_fixed_size 4096
		.amdhsa_private_segment_fixed_size 0
		.amdhsa_kernarg_size 16
		.amdhsa_user_sgpr_count 2
		.amdhsa_user_sgpr_dispatch_ptr 0
		.amdhsa_user_sgpr_queue_ptr 0
		.amdhsa_user_sgpr_kernarg_segment_ptr 1
		.amdhsa_user_sgpr_dispatch_id 0
		.amdhsa_user_sgpr_kernarg_preload_length 0
		.amdhsa_user_sgpr_kernarg_preload_offset 0
		.amdhsa_user_sgpr_private_segment_size 0
		.amdhsa_uses_dynamic_stack 0
		.amdhsa_enable_private_segment 0
		.amdhsa_system_sgpr_workgroup_id_x 1
		.amdhsa_system_sgpr_workgroup_id_y 0
		.amdhsa_system_sgpr_workgroup_id_z 0
		.amdhsa_system_sgpr_workgroup_info 0
		.amdhsa_system_vgpr_workitem_id 0
		.amdhsa_next_free_vgpr 10
		.amdhsa_next_free_sgpr 6
		.amdhsa_accum_offset 12
		.amdhsa_reserve_vcc 1
		.amdhsa_float_round_mode_32 0
		.amdhsa_float_round_mode_16_64 0
		.amdhsa_float_denorm_mode_32 3
		.amdhsa_float_denorm_mode_16_64 3
		.amdhsa_dx10_clamp 1
		.amdhsa_ieee_mode 1
		.amdhsa_fp16_overflow 0
		.amdhsa_tg_split 0
		.amdhsa_exception_fp_ieee_invalid_op 0
		.amdhsa_exception_fp_denorm_src 0
		.amdhsa_exception_fp_ieee_div_zero 0
		.amdhsa_exception_fp_ieee_overflow 0
		.amdhsa_exception_fp_ieee_underflow 0
		.amdhsa_exception_fp_ieee_inexact 0
		.amdhsa_exception_int_div_zero 0
	.end_amdhsa_kernel
	.section	.text._ZN9rocsparseL17doti_kernel_part2ILj256E21rocsparse_complex_numIdEEEvPT0_S4_,"axG",@progbits,_ZN9rocsparseL17doti_kernel_part2ILj256E21rocsparse_complex_numIdEEEvPT0_S4_,comdat
.Lfunc_end10:
	.size	_ZN9rocsparseL17doti_kernel_part2ILj256E21rocsparse_complex_numIdEEEvPT0_S4_, .Lfunc_end10-_ZN9rocsparseL17doti_kernel_part2ILj256E21rocsparse_complex_numIdEEEvPT0_S4_
                                        ; -- End function
	.set _ZN9rocsparseL17doti_kernel_part2ILj256E21rocsparse_complex_numIdEEEvPT0_S4_.num_vgpr, 10
	.set _ZN9rocsparseL17doti_kernel_part2ILj256E21rocsparse_complex_numIdEEEvPT0_S4_.num_agpr, 0
	.set _ZN9rocsparseL17doti_kernel_part2ILj256E21rocsparse_complex_numIdEEEvPT0_S4_.numbered_sgpr, 6
	.set _ZN9rocsparseL17doti_kernel_part2ILj256E21rocsparse_complex_numIdEEEvPT0_S4_.num_named_barrier, 0
	.set _ZN9rocsparseL17doti_kernel_part2ILj256E21rocsparse_complex_numIdEEEvPT0_S4_.private_seg_size, 0
	.set _ZN9rocsparseL17doti_kernel_part2ILj256E21rocsparse_complex_numIdEEEvPT0_S4_.uses_vcc, 1
	.set _ZN9rocsparseL17doti_kernel_part2ILj256E21rocsparse_complex_numIdEEEvPT0_S4_.uses_flat_scratch, 0
	.set _ZN9rocsparseL17doti_kernel_part2ILj256E21rocsparse_complex_numIdEEEvPT0_S4_.has_dyn_sized_stack, 0
	.set _ZN9rocsparseL17doti_kernel_part2ILj256E21rocsparse_complex_numIdEEEvPT0_S4_.has_recursion, 0
	.set _ZN9rocsparseL17doti_kernel_part2ILj256E21rocsparse_complex_numIdEEEvPT0_S4_.has_indirect_call, 0
	.section	.AMDGPU.csdata,"",@progbits
; Kernel info:
; codeLenInByte = 644
; TotalNumSgprs: 12
; NumVgprs: 10
; NumAgprs: 0
; TotalNumVgprs: 10
; ScratchSize: 0
; MemoryBound: 0
; FloatMode: 240
; IeeeMode: 1
; LDSByteSize: 4096 bytes/workgroup (compile time only)
; SGPRBlocks: 1
; VGPRBlocks: 1
; NumSGPRsForWavesPerEU: 12
; NumVGPRsForWavesPerEU: 10
; AccumOffset: 12
; Occupancy: 8
; WaveLimiterHint : 0
; COMPUTE_PGM_RSRC2:SCRATCH_EN: 0
; COMPUTE_PGM_RSRC2:USER_SGPR: 2
; COMPUTE_PGM_RSRC2:TRAP_HANDLER: 0
; COMPUTE_PGM_RSRC2:TGID_X_EN: 1
; COMPUTE_PGM_RSRC2:TGID_Y_EN: 0
; COMPUTE_PGM_RSRC2:TGID_Z_EN: 0
; COMPUTE_PGM_RSRC2:TIDIG_COMP_CNT: 0
; COMPUTE_PGM_RSRC3_GFX90A:ACCUM_OFFSET: 2
; COMPUTE_PGM_RSRC3_GFX90A:TG_SPLIT: 0
	.section	.text._ZN9rocsparseL17doti_kernel_part1ILj256ELj2El21rocsparse_complex_numIdES2_S2_EEvT1_PKT2_PKS3_PKT3_PT4_21rocsparse_index_base_,"axG",@progbits,_ZN9rocsparseL17doti_kernel_part1ILj256ELj2El21rocsparse_complex_numIdES2_S2_EEvT1_PKT2_PKS3_PKT3_PT4_21rocsparse_index_base_,comdat
	.globl	_ZN9rocsparseL17doti_kernel_part1ILj256ELj2El21rocsparse_complex_numIdES2_S2_EEvT1_PKT2_PKS3_PKT3_PT4_21rocsparse_index_base_ ; -- Begin function _ZN9rocsparseL17doti_kernel_part1ILj256ELj2El21rocsparse_complex_numIdES2_S2_EEvT1_PKT2_PKS3_PKT3_PT4_21rocsparse_index_base_
	.p2align	8
	.type	_ZN9rocsparseL17doti_kernel_part1ILj256ELj2El21rocsparse_complex_numIdES2_S2_EEvT1_PKT2_PKS3_PKT3_PT4_21rocsparse_index_base_,@function
_ZN9rocsparseL17doti_kernel_part1ILj256ELj2El21rocsparse_complex_numIdES2_S2_EEvT1_PKT2_PKS3_PKT3_PT4_21rocsparse_index_base_: ; @_ZN9rocsparseL17doti_kernel_part1ILj256ELj2El21rocsparse_complex_numIdES2_S2_EEvT1_PKT2_PKS3_PKT3_PT4_21rocsparse_index_base_
; %bb.0:
	s_load_dwordx8 s[4:11], s[0:1], 0x0
	s_load_dwordx2 s[12:13], s[0:1], 0x20
	s_load_dword s3, s[0:1], 0x28
	s_load_dword s20, s[0:1], 0x30
	s_mov_b32 s1, 0
	s_lshl_b32 s14, s2, 8
	v_or_b32_e32 v1, s14, v0
	v_mov_b32_e32 v5, 0
	s_waitcnt lgkmcnt(0)
	s_lshl_b32 s0, s20, 9
	v_mov_b64_e32 v[2:3], s[0:1]
	v_cmp_le_i64_e32 vcc, s[4:5], v[2:3]
	v_mov_b64_e32 v[2:3], 0
	s_cbranch_vccnz .LBB11_3
; %bb.1:
	v_add_u32_e32 v4, s14, v1
	v_lshl_add_u64 v[2:3], v[4:5], 4, s[6:7]
	s_mov_b64 s[14:15], 0x1000
	v_lshl_add_u64 v[6:7], v[2:3], 0, s[14:15]
	v_lshl_add_u64 v[2:3], v[4:5], 3, s[8:9]
	s_mov_b64 s[14:15], 0x800
	v_lshl_add_u64 v[8:9], v[2:3], 0, s[14:15]
	v_mov_b64_e32 v[2:3], 0
	s_lshl_b64 s[16:17], s[0:1], 4
	s_lshl_b64 s[18:19], s[0:1], 3
	v_mov_b64_e32 v[10:11], s[4:5]
	s_mov_b64 s[14:15], s[0:1]
	v_mov_b64_e32 v[4:5], v[2:3]
.LBB11_2:                               ; =>This Inner Loop Header: Depth=1
	global_load_dwordx2 v[20:21], v[8:9], off offset:-2048
	global_load_dwordx2 v[22:23], v[8:9], off
	global_load_dwordx4 v[12:15], v[6:7], off offset:-4096
	global_load_dwordx4 v[16:19], v[6:7], off
	s_add_u32 s14, s14, s0
	s_addc_u32 s15, s15, 0
	v_lshl_add_u64 v[6:7], v[6:7], 0, s[16:17]
	v_lshl_add_u64 v[8:9], v[8:9], 0, s[18:19]
	s_waitcnt vmcnt(3)
	v_subrev_co_u32_e32 v20, vcc, s3, v20
	s_nop 1
	v_subbrev_co_u32_e32 v21, vcc, 0, v21, vcc
	s_waitcnt vmcnt(2)
	v_subrev_co_u32_e32 v22, vcc, s3, v22
	v_lshl_add_u64 v[28:29], v[20:21], 4, s[10:11]
	s_nop 0
	v_subbrev_co_u32_e32 v23, vcc, 0, v23, vcc
	v_lshl_add_u64 v[30:31], v[22:23], 4, s[10:11]
	global_load_dwordx4 v[20:23], v[28:29], off
	global_load_dwordx4 v[24:27], v[30:31], off
	v_cmp_lt_i64_e32 vcc, s[14:15], v[10:11]
	s_and_b64 vcc, exec, vcc
	s_waitcnt vmcnt(1)
	v_fmac_f64_e32 v[2:3], v[20:21], v[12:13]
	v_fmac_f64_e32 v[4:5], v[22:23], v[12:13]
	v_fma_f64 v[2:3], -v[22:23], v[14:15], v[2:3]
	v_fmac_f64_e32 v[4:5], v[20:21], v[14:15]
	s_waitcnt vmcnt(0)
	v_fmac_f64_e32 v[2:3], v[24:25], v[16:17]
	v_fmac_f64_e32 v[4:5], v[26:27], v[16:17]
	v_fma_f64 v[2:3], -v[26:27], v[18:19], v[2:3]
	v_fmac_f64_e32 v[4:5], v[24:25], v[18:19]
	s_cbranch_vccnz .LBB11_2
	s_branch .LBB11_4
.LBB11_3:
	s_mov_b64 s[14:15], s[0:1]
	v_mov_b64_e32 v[4:5], 0
.LBB11_4:
	v_subrev_co_u32_e32 v6, vcc, s0, v1
	s_nop 1
	v_subb_co_u32_e64 v7, s[0:1], 0, 0, vcc
	v_lshl_add_u64 v[6:7], v[6:7], 0, s[14:15]
	v_cmp_gt_i64_e32 vcc, s[4:5], v[6:7]
	s_and_saveexec_b64 s[0:1], vcc
	s_cbranch_execz .LBB11_8
; %bb.5:
	s_mov_b32 s15, 0
	s_lshl_b32 s14, s20, 8
	v_lshl_add_u64 v[8:9], v[6:7], 4, s[6:7]
	v_lshl_add_u64 v[8:9], v[8:9], 0, 8
	s_lshl_b64 s[6:7], s[14:15], 4
	v_lshl_add_u64 v[10:11], v[6:7], 3, s[8:9]
	s_lshl_b64 s[16:17], s[14:15], 3
	s_mov_b64 s[8:9], 0
.LBB11_6:                               ; =>This Inner Loop Header: Depth=1
	global_load_dwordx2 v[16:17], v[10:11], off
	global_load_dwordx4 v[12:15], v[8:9], off offset:-8
	v_lshl_add_u64 v[6:7], v[6:7], 0, s[14:15]
	v_lshl_add_u64 v[8:9], v[8:9], 0, s[6:7]
	;; [unrolled: 1-line block ×3, first 2 shown]
	s_waitcnt vmcnt(1)
	v_subrev_co_u32_e32 v16, vcc, s3, v16
	s_nop 1
	v_subbrev_co_u32_e32 v17, vcc, 0, v17, vcc
	v_lshl_add_u64 v[16:17], v[16:17], 4, s[10:11]
	global_load_dwordx4 v[16:19], v[16:17], off
	v_cmp_le_i64_e32 vcc, s[4:5], v[6:7]
	s_or_b64 s[8:9], vcc, s[8:9]
	s_waitcnt vmcnt(0)
	v_fmac_f64_e32 v[2:3], v[16:17], v[12:13]
	v_fmac_f64_e32 v[4:5], v[18:19], v[12:13]
	v_fma_f64 v[2:3], -v[18:19], v[14:15], v[2:3]
	v_fmac_f64_e32 v[4:5], v[16:17], v[14:15]
	s_andn2_b64 exec, exec, s[8:9]
	s_cbranch_execnz .LBB11_6
; %bb.7:
	s_or_b64 exec, exec, s[8:9]
.LBB11_8:
	s_or_b64 exec, exec, s[0:1]
	s_movk_i32 s0, 0x80
	v_lshlrev_b32_e32 v1, 4, v0
	v_cmp_gt_u32_e32 vcc, s0, v0
	ds_write_b128 v1, v[2:5]
	s_waitcnt lgkmcnt(0)
	s_barrier
	s_and_saveexec_b64 s[0:1], vcc
	s_cbranch_execz .LBB11_10
; %bb.9:
	ds_read_b128 v[2:5], v1 offset:2048
	ds_read_b128 v[6:9], v1
	s_waitcnt lgkmcnt(0)
	v_add_f64 v[2:3], v[2:3], v[6:7]
	v_add_f64 v[4:5], v[4:5], v[8:9]
	ds_write_b128 v1, v[2:5]
.LBB11_10:
	s_or_b64 exec, exec, s[0:1]
	v_cmp_gt_u32_e32 vcc, 64, v0
	s_waitcnt lgkmcnt(0)
	s_barrier
	s_and_saveexec_b64 s[0:1], vcc
	s_cbranch_execz .LBB11_12
; %bb.11:
	ds_read_b128 v[2:5], v1 offset:1024
	ds_read_b128 v[6:9], v1
	s_waitcnt lgkmcnt(0)
	v_add_f64 v[2:3], v[2:3], v[6:7]
	v_add_f64 v[4:5], v[4:5], v[8:9]
	ds_write_b128 v1, v[2:5]
.LBB11_12:
	s_or_b64 exec, exec, s[0:1]
	v_cmp_gt_u32_e32 vcc, 32, v0
	;; [unrolled: 14-line block ×6, first 2 shown]
	s_waitcnt lgkmcnt(0)
	s_barrier
	s_and_saveexec_b64 s[0:1], vcc
	s_cbranch_execz .LBB11_22
; %bb.21:
	ds_read_b128 v[2:5], v1
	ds_read_b128 v[6:9], v1 offset:32
	s_waitcnt lgkmcnt(0)
	v_add_f64 v[2:3], v[6:7], v[2:3]
	v_add_f64 v[4:5], v[8:9], v[4:5]
	ds_write_b128 v1, v[2:5]
.LBB11_22:
	s_or_b64 exec, exec, s[0:1]
	v_cmp_eq_u32_e32 vcc, 0, v0
	s_waitcnt lgkmcnt(0)
	s_barrier
	s_and_saveexec_b64 s[0:1], vcc
	s_cbranch_execz .LBB11_24
; %bb.23:
	v_mov_b32_e32 v8, 0
	ds_read_b128 v[0:3], v8
	ds_read_b128 v[4:7], v8 offset:16
	s_waitcnt lgkmcnt(0)
	v_add_f64 v[0:1], v[4:5], v[0:1]
	v_add_f64 v[2:3], v[6:7], v[2:3]
	ds_write_b128 v8, v[0:3]
.LBB11_24:
	s_or_b64 exec, exec, s[0:1]
	s_waitcnt lgkmcnt(0)
	s_barrier
	s_and_saveexec_b64 s[0:1], vcc
	s_cbranch_execz .LBB11_26
; %bb.25:
	v_mov_b32_e32 v4, 0
	ds_read_b128 v[0:3], v4
	s_mov_b32 s3, 0
	s_lshl_b64 s[0:1], s[2:3], 4
	s_add_u32 s0, s12, s0
	s_addc_u32 s1, s13, s1
	s_waitcnt lgkmcnt(0)
	global_store_dwordx4 v4, v[0:3], s[0:1]
.LBB11_26:
	s_endpgm
	.section	.rodata,"a",@progbits
	.p2align	6, 0x0
	.amdhsa_kernel _ZN9rocsparseL17doti_kernel_part1ILj256ELj2El21rocsparse_complex_numIdES2_S2_EEvT1_PKT2_PKS3_PKT3_PT4_21rocsparse_index_base_
		.amdhsa_group_segment_fixed_size 4096
		.amdhsa_private_segment_fixed_size 0
		.amdhsa_kernarg_size 304
		.amdhsa_user_sgpr_count 2
		.amdhsa_user_sgpr_dispatch_ptr 0
		.amdhsa_user_sgpr_queue_ptr 0
		.amdhsa_user_sgpr_kernarg_segment_ptr 1
		.amdhsa_user_sgpr_dispatch_id 0
		.amdhsa_user_sgpr_kernarg_preload_length 0
		.amdhsa_user_sgpr_kernarg_preload_offset 0
		.amdhsa_user_sgpr_private_segment_size 0
		.amdhsa_uses_dynamic_stack 0
		.amdhsa_enable_private_segment 0
		.amdhsa_system_sgpr_workgroup_id_x 1
		.amdhsa_system_sgpr_workgroup_id_y 0
		.amdhsa_system_sgpr_workgroup_id_z 0
		.amdhsa_system_sgpr_workgroup_info 0
		.amdhsa_system_vgpr_workitem_id 0
		.amdhsa_next_free_vgpr 32
		.amdhsa_next_free_sgpr 21
		.amdhsa_accum_offset 32
		.amdhsa_reserve_vcc 1
		.amdhsa_float_round_mode_32 0
		.amdhsa_float_round_mode_16_64 0
		.amdhsa_float_denorm_mode_32 3
		.amdhsa_float_denorm_mode_16_64 3
		.amdhsa_dx10_clamp 1
		.amdhsa_ieee_mode 1
		.amdhsa_fp16_overflow 0
		.amdhsa_tg_split 0
		.amdhsa_exception_fp_ieee_invalid_op 0
		.amdhsa_exception_fp_denorm_src 0
		.amdhsa_exception_fp_ieee_div_zero 0
		.amdhsa_exception_fp_ieee_overflow 0
		.amdhsa_exception_fp_ieee_underflow 0
		.amdhsa_exception_fp_ieee_inexact 0
		.amdhsa_exception_int_div_zero 0
	.end_amdhsa_kernel
	.section	.text._ZN9rocsparseL17doti_kernel_part1ILj256ELj2El21rocsparse_complex_numIdES2_S2_EEvT1_PKT2_PKS3_PKT3_PT4_21rocsparse_index_base_,"axG",@progbits,_ZN9rocsparseL17doti_kernel_part1ILj256ELj2El21rocsparse_complex_numIdES2_S2_EEvT1_PKT2_PKS3_PKT3_PT4_21rocsparse_index_base_,comdat
.Lfunc_end11:
	.size	_ZN9rocsparseL17doti_kernel_part1ILj256ELj2El21rocsparse_complex_numIdES2_S2_EEvT1_PKT2_PKS3_PKT3_PT4_21rocsparse_index_base_, .Lfunc_end11-_ZN9rocsparseL17doti_kernel_part1ILj256ELj2El21rocsparse_complex_numIdES2_S2_EEvT1_PKT2_PKS3_PKT3_PT4_21rocsparse_index_base_
                                        ; -- End function
	.set _ZN9rocsparseL17doti_kernel_part1ILj256ELj2El21rocsparse_complex_numIdES2_S2_EEvT1_PKT2_PKS3_PKT3_PT4_21rocsparse_index_base_.num_vgpr, 32
	.set _ZN9rocsparseL17doti_kernel_part1ILj256ELj2El21rocsparse_complex_numIdES2_S2_EEvT1_PKT2_PKS3_PKT3_PT4_21rocsparse_index_base_.num_agpr, 0
	.set _ZN9rocsparseL17doti_kernel_part1ILj256ELj2El21rocsparse_complex_numIdES2_S2_EEvT1_PKT2_PKS3_PKT3_PT4_21rocsparse_index_base_.numbered_sgpr, 21
	.set _ZN9rocsparseL17doti_kernel_part1ILj256ELj2El21rocsparse_complex_numIdES2_S2_EEvT1_PKT2_PKS3_PKT3_PT4_21rocsparse_index_base_.num_named_barrier, 0
	.set _ZN9rocsparseL17doti_kernel_part1ILj256ELj2El21rocsparse_complex_numIdES2_S2_EEvT1_PKT2_PKS3_PKT3_PT4_21rocsparse_index_base_.private_seg_size, 0
	.set _ZN9rocsparseL17doti_kernel_part1ILj256ELj2El21rocsparse_complex_numIdES2_S2_EEvT1_PKT2_PKS3_PKT3_PT4_21rocsparse_index_base_.uses_vcc, 1
	.set _ZN9rocsparseL17doti_kernel_part1ILj256ELj2El21rocsparse_complex_numIdES2_S2_EEvT1_PKT2_PKS3_PKT3_PT4_21rocsparse_index_base_.uses_flat_scratch, 0
	.set _ZN9rocsparseL17doti_kernel_part1ILj256ELj2El21rocsparse_complex_numIdES2_S2_EEvT1_PKT2_PKS3_PKT3_PT4_21rocsparse_index_base_.has_dyn_sized_stack, 0
	.set _ZN9rocsparseL17doti_kernel_part1ILj256ELj2El21rocsparse_complex_numIdES2_S2_EEvT1_PKT2_PKS3_PKT3_PT4_21rocsparse_index_base_.has_recursion, 0
	.set _ZN9rocsparseL17doti_kernel_part1ILj256ELj2El21rocsparse_complex_numIdES2_S2_EEvT1_PKT2_PKS3_PKT3_PT4_21rocsparse_index_base_.has_indirect_call, 0
	.section	.AMDGPU.csdata,"",@progbits
; Kernel info:
; codeLenInByte = 1164
; TotalNumSgprs: 27
; NumVgprs: 32
; NumAgprs: 0
; TotalNumVgprs: 32
; ScratchSize: 0
; MemoryBound: 0
; FloatMode: 240
; IeeeMode: 1
; LDSByteSize: 4096 bytes/workgroup (compile time only)
; SGPRBlocks: 3
; VGPRBlocks: 3
; NumSGPRsForWavesPerEU: 27
; NumVGPRsForWavesPerEU: 32
; AccumOffset: 32
; Occupancy: 8
; WaveLimiterHint : 1
; COMPUTE_PGM_RSRC2:SCRATCH_EN: 0
; COMPUTE_PGM_RSRC2:USER_SGPR: 2
; COMPUTE_PGM_RSRC2:TRAP_HANDLER: 0
; COMPUTE_PGM_RSRC2:TGID_X_EN: 1
; COMPUTE_PGM_RSRC2:TGID_Y_EN: 0
; COMPUTE_PGM_RSRC2:TGID_Z_EN: 0
; COMPUTE_PGM_RSRC2:TIDIG_COMP_CNT: 0
; COMPUTE_PGM_RSRC3_GFX90A:ACCUM_OFFSET: 7
; COMPUTE_PGM_RSRC3_GFX90A:TG_SPLIT: 0
	.section	.text._ZN9rocsparseL17doti_kernel_part1ILj256ELj2EiaaiEEvT1_PKT2_PKS1_PKT3_PT4_21rocsparse_index_base_,"axG",@progbits,_ZN9rocsparseL17doti_kernel_part1ILj256ELj2EiaaiEEvT1_PKT2_PKS1_PKT3_PT4_21rocsparse_index_base_,comdat
	.globl	_ZN9rocsparseL17doti_kernel_part1ILj256ELj2EiaaiEEvT1_PKT2_PKS1_PKT3_PT4_21rocsparse_index_base_ ; -- Begin function _ZN9rocsparseL17doti_kernel_part1ILj256ELj2EiaaiEEvT1_PKT2_PKS1_PKT3_PT4_21rocsparse_index_base_
	.p2align	8
	.type	_ZN9rocsparseL17doti_kernel_part1ILj256ELj2EiaaiEEvT1_PKT2_PKS1_PKT3_PT4_21rocsparse_index_base_,@function
_ZN9rocsparseL17doti_kernel_part1ILj256ELj2EiaaiEEvT1_PKT2_PKS1_PKT3_PT4_21rocsparse_index_base_: ; @_ZN9rocsparseL17doti_kernel_part1ILj256ELj2EiaaiEEvT1_PKT2_PKS1_PKT3_PT4_21rocsparse_index_base_
; %bb.0:
	s_load_dword s12, s[0:1], 0x30
	s_load_dword s3, s[0:1], 0x0
	;; [unrolled: 1-line block ×3, first 2 shown]
	s_load_dwordx8 s[4:11], s[0:1], 0x8
	v_mov_b32_e32 v1, 0
	s_waitcnt lgkmcnt(0)
	s_lshl_b32 s0, s12, 9
	s_cmp_ge_i32 s0, s3
	s_mov_b32 s15, s0
	s_cbranch_scc1 .LBB12_3
; %bb.1:
	v_lshl_or_b32 v4, s2, 9, v0
	s_mov_b32 s1, 0
	v_mov_b32_e32 v3, 0
	s_mov_b32 s13, 0xc0c0400
	v_mov_b32_e32 v1, 0
.LBB12_2:                               ; =>This Inner Loop Header: Depth=1
	v_add_u32_e32 v2, s1, v4
	v_lshl_add_u64 v[6:7], v[2:3], 2, s[6:7]
	global_load_sbyte v5, v2, s[4:5]
	v_add_u32_e32 v2, 0x100, v2
	global_load_dword v8, v[6:7], off
	v_lshl_add_u64 v[6:7], v[2:3], 2, s[6:7]
	global_load_dword v9, v[6:7], off
	global_load_sbyte v10, v2, s[4:5]
	s_add_i32 s1, s1, s0
	s_add_i32 s15, s0, s1
	s_cmp_lt_i32 s15, s3
	s_waitcnt vmcnt(2)
	v_subrev_u32_e32 v6, s14, v8
	v_ashrrev_i32_e32 v7, 31, v6
	s_waitcnt vmcnt(1)
	v_subrev_u32_e32 v8, s14, v9
	v_lshl_add_u64 v[6:7], s[8:9], 0, v[6:7]
	v_ashrrev_i32_e32 v9, 31, v8
	v_lshl_add_u64 v[8:9], s[8:9], 0, v[8:9]
	global_load_sbyte v2, v[6:7], off
	global_load_sbyte v11, v[8:9], off
	s_waitcnt vmcnt(2)
	v_perm_b32 v5, v10, v5, s13
	s_waitcnt vmcnt(0)
	v_perm_b32 v2, v11, v2, s13
	v_dot4c_i32_i8_e32 v1, v5, v2
	s_cbranch_scc1 .LBB12_2
.LBB12_3:
	v_lshl_or_b32 v2, s2, 8, v0
	v_subrev_u32_e32 v2, s0, v2
	v_add_u32_e32 v2, s15, v2
	v_cmp_gt_i32_e32 vcc, s3, v2
	s_and_saveexec_b64 s[0:1], vcc
	s_cbranch_execz .LBB12_7
; %bb.4:
	s_lshl_b32 s15, s12, 8
	s_mov_b64 s[12:13], 0
.LBB12_5:                               ; =>This Inner Loop Header: Depth=1
	v_ashrrev_i32_e32 v3, 31, v2
	v_lshl_add_u64 v[4:5], v[2:3], 2, s[6:7]
	global_load_dword v6, v[4:5], off
	v_lshl_add_u64 v[4:5], s[4:5], 0, v[2:3]
	v_add_u32_e32 v2, s15, v2
	v_cmp_le_i32_e32 vcc, s3, v2
	s_or_b64 s[12:13], vcc, s[12:13]
	s_waitcnt vmcnt(0)
	v_subrev_u32_e32 v6, s14, v6
	v_ashrrev_i32_e32 v7, 31, v6
	v_lshl_add_u64 v[6:7], s[8:9], 0, v[6:7]
	global_load_sbyte v3, v[6:7], off
	global_load_sbyte v8, v[4:5], off
	s_waitcnt vmcnt(0)
	v_mad_i32_i24 v1, v8, v3, v1
	s_andn2_b64 exec, exec, s[12:13]
	s_cbranch_execnz .LBB12_5
; %bb.6:
	s_or_b64 exec, exec, s[12:13]
.LBB12_7:
	s_or_b64 exec, exec, s[0:1]
	s_movk_i32 s0, 0x80
	v_lshlrev_b32_e32 v2, 2, v0
	v_cmp_gt_u32_e32 vcc, s0, v0
	ds_write_b32 v2, v1
	s_waitcnt lgkmcnt(0)
	s_barrier
	s_and_saveexec_b64 s[0:1], vcc
	s_cbranch_execz .LBB12_9
; %bb.8:
	ds_read2st64_b32 v[4:5], v2 offset1:2
	s_waitcnt lgkmcnt(0)
	v_add_u32_e32 v1, v5, v4
	ds_write_b32 v2, v1
.LBB12_9:
	s_or_b64 exec, exec, s[0:1]
	v_cmp_gt_u32_e32 vcc, 64, v0
	s_waitcnt lgkmcnt(0)
	s_barrier
	s_and_saveexec_b64 s[0:1], vcc
	s_cbranch_execz .LBB12_11
; %bb.10:
	ds_read2st64_b32 v[4:5], v2 offset1:1
	s_waitcnt lgkmcnt(0)
	v_add_u32_e32 v1, v5, v4
	ds_write_b32 v2, v1
.LBB12_11:
	s_or_b64 exec, exec, s[0:1]
	v_cmp_gt_u32_e32 vcc, 32, v0
	s_waitcnt lgkmcnt(0)
	s_barrier
	s_and_saveexec_b64 s[0:1], vcc
	s_cbranch_execz .LBB12_13
; %bb.12:
	ds_read2_b32 v[4:5], v2 offset1:32
	s_waitcnt lgkmcnt(0)
	v_add_u32_e32 v1, v5, v4
	ds_write_b32 v2, v1
.LBB12_13:
	s_or_b64 exec, exec, s[0:1]
	v_cmp_gt_u32_e32 vcc, 16, v0
	s_waitcnt lgkmcnt(0)
	s_barrier
	s_and_saveexec_b64 s[0:1], vcc
	s_cbranch_execz .LBB12_15
; %bb.14:
	ds_read2_b32 v[4:5], v2 offset1:16
	s_waitcnt lgkmcnt(0)
	v_add_u32_e32 v1, v5, v4
	ds_write_b32 v2, v1
.LBB12_15:
	;; [unrolled: 12-line block ×5, first 2 shown]
	s_or_b64 exec, exec, s[0:1]
	v_cmp_eq_u32_e32 vcc, 0, v0
	s_waitcnt lgkmcnt(0)
	s_barrier
	s_and_saveexec_b64 s[0:1], vcc
	s_cbranch_execz .LBB12_23
; %bb.22:
	v_mov_b32_e32 v2, 0
	ds_read_b64 v[0:1], v2
	s_waitcnt lgkmcnt(0)
	v_add_u32_e32 v0, v1, v0
	ds_write_b32 v2, v0
.LBB12_23:
	s_or_b64 exec, exec, s[0:1]
	s_waitcnt lgkmcnt(0)
	s_barrier
	s_and_saveexec_b64 s[0:1], vcc
	s_cbranch_execz .LBB12_25
; %bb.24:
	v_mov_b32_e32 v0, 0
	ds_read_b32 v1, v0
	s_mov_b32 s3, 0
	s_lshl_b64 s[0:1], s[2:3], 2
	s_add_u32 s0, s10, s0
	s_addc_u32 s1, s11, s1
	s_waitcnt lgkmcnt(0)
	global_store_dword v0, v1, s[0:1]
.LBB12_25:
	s_endpgm
	.section	.rodata,"a",@progbits
	.p2align	6, 0x0
	.amdhsa_kernel _ZN9rocsparseL17doti_kernel_part1ILj256ELj2EiaaiEEvT1_PKT2_PKS1_PKT3_PT4_21rocsparse_index_base_
		.amdhsa_group_segment_fixed_size 1024
		.amdhsa_private_segment_fixed_size 0
		.amdhsa_kernarg_size 304
		.amdhsa_user_sgpr_count 2
		.amdhsa_user_sgpr_dispatch_ptr 0
		.amdhsa_user_sgpr_queue_ptr 0
		.amdhsa_user_sgpr_kernarg_segment_ptr 1
		.amdhsa_user_sgpr_dispatch_id 0
		.amdhsa_user_sgpr_kernarg_preload_length 0
		.amdhsa_user_sgpr_kernarg_preload_offset 0
		.amdhsa_user_sgpr_private_segment_size 0
		.amdhsa_uses_dynamic_stack 0
		.amdhsa_enable_private_segment 0
		.amdhsa_system_sgpr_workgroup_id_x 1
		.amdhsa_system_sgpr_workgroup_id_y 0
		.amdhsa_system_sgpr_workgroup_id_z 0
		.amdhsa_system_sgpr_workgroup_info 0
		.amdhsa_system_vgpr_workitem_id 0
		.amdhsa_next_free_vgpr 12
		.amdhsa_next_free_sgpr 16
		.amdhsa_accum_offset 12
		.amdhsa_reserve_vcc 1
		.amdhsa_float_round_mode_32 0
		.amdhsa_float_round_mode_16_64 0
		.amdhsa_float_denorm_mode_32 3
		.amdhsa_float_denorm_mode_16_64 3
		.amdhsa_dx10_clamp 1
		.amdhsa_ieee_mode 1
		.amdhsa_fp16_overflow 0
		.amdhsa_tg_split 0
		.amdhsa_exception_fp_ieee_invalid_op 0
		.amdhsa_exception_fp_denorm_src 0
		.amdhsa_exception_fp_ieee_div_zero 0
		.amdhsa_exception_fp_ieee_overflow 0
		.amdhsa_exception_fp_ieee_underflow 0
		.amdhsa_exception_fp_ieee_inexact 0
		.amdhsa_exception_int_div_zero 0
	.end_amdhsa_kernel
	.section	.text._ZN9rocsparseL17doti_kernel_part1ILj256ELj2EiaaiEEvT1_PKT2_PKS1_PKT3_PT4_21rocsparse_index_base_,"axG",@progbits,_ZN9rocsparseL17doti_kernel_part1ILj256ELj2EiaaiEEvT1_PKT2_PKS1_PKT3_PT4_21rocsparse_index_base_,comdat
.Lfunc_end12:
	.size	_ZN9rocsparseL17doti_kernel_part1ILj256ELj2EiaaiEEvT1_PKT2_PKS1_PKT3_PT4_21rocsparse_index_base_, .Lfunc_end12-_ZN9rocsparseL17doti_kernel_part1ILj256ELj2EiaaiEEvT1_PKT2_PKS1_PKT3_PT4_21rocsparse_index_base_
                                        ; -- End function
	.set _ZN9rocsparseL17doti_kernel_part1ILj256ELj2EiaaiEEvT1_PKT2_PKS1_PKT3_PT4_21rocsparse_index_base_.num_vgpr, 12
	.set _ZN9rocsparseL17doti_kernel_part1ILj256ELj2EiaaiEEvT1_PKT2_PKS1_PKT3_PT4_21rocsparse_index_base_.num_agpr, 0
	.set _ZN9rocsparseL17doti_kernel_part1ILj256ELj2EiaaiEEvT1_PKT2_PKS1_PKT3_PT4_21rocsparse_index_base_.numbered_sgpr, 16
	.set _ZN9rocsparseL17doti_kernel_part1ILj256ELj2EiaaiEEvT1_PKT2_PKS1_PKT3_PT4_21rocsparse_index_base_.num_named_barrier, 0
	.set _ZN9rocsparseL17doti_kernel_part1ILj256ELj2EiaaiEEvT1_PKT2_PKS1_PKT3_PT4_21rocsparse_index_base_.private_seg_size, 0
	.set _ZN9rocsparseL17doti_kernel_part1ILj256ELj2EiaaiEEvT1_PKT2_PKS1_PKT3_PT4_21rocsparse_index_base_.uses_vcc, 1
	.set _ZN9rocsparseL17doti_kernel_part1ILj256ELj2EiaaiEEvT1_PKT2_PKS1_PKT3_PT4_21rocsparse_index_base_.uses_flat_scratch, 0
	.set _ZN9rocsparseL17doti_kernel_part1ILj256ELj2EiaaiEEvT1_PKT2_PKS1_PKT3_PT4_21rocsparse_index_base_.has_dyn_sized_stack, 0
	.set _ZN9rocsparseL17doti_kernel_part1ILj256ELj2EiaaiEEvT1_PKT2_PKS1_PKT3_PT4_21rocsparse_index_base_.has_recursion, 0
	.set _ZN9rocsparseL17doti_kernel_part1ILj256ELj2EiaaiEEvT1_PKT2_PKS1_PKT3_PT4_21rocsparse_index_base_.has_indirect_call, 0
	.section	.AMDGPU.csdata,"",@progbits
; Kernel info:
; codeLenInByte = 848
; TotalNumSgprs: 22
; NumVgprs: 12
; NumAgprs: 0
; TotalNumVgprs: 12
; ScratchSize: 0
; MemoryBound: 0
; FloatMode: 240
; IeeeMode: 1
; LDSByteSize: 1024 bytes/workgroup (compile time only)
; SGPRBlocks: 2
; VGPRBlocks: 1
; NumSGPRsForWavesPerEU: 22
; NumVGPRsForWavesPerEU: 12
; AccumOffset: 12
; Occupancy: 8
; WaveLimiterHint : 1
; COMPUTE_PGM_RSRC2:SCRATCH_EN: 0
; COMPUTE_PGM_RSRC2:USER_SGPR: 2
; COMPUTE_PGM_RSRC2:TRAP_HANDLER: 0
; COMPUTE_PGM_RSRC2:TGID_X_EN: 1
; COMPUTE_PGM_RSRC2:TGID_Y_EN: 0
; COMPUTE_PGM_RSRC2:TGID_Z_EN: 0
; COMPUTE_PGM_RSRC2:TIDIG_COMP_CNT: 0
; COMPUTE_PGM_RSRC3_GFX90A:ACCUM_OFFSET: 2
; COMPUTE_PGM_RSRC3_GFX90A:TG_SPLIT: 0
	.section	.text._ZN9rocsparseL17doti_kernel_part2ILj256EiEEvPT0_S2_,"axG",@progbits,_ZN9rocsparseL17doti_kernel_part2ILj256EiEEvPT0_S2_,comdat
	.globl	_ZN9rocsparseL17doti_kernel_part2ILj256EiEEvPT0_S2_ ; -- Begin function _ZN9rocsparseL17doti_kernel_part2ILj256EiEEvPT0_S2_
	.p2align	8
	.type	_ZN9rocsparseL17doti_kernel_part2ILj256EiEEvPT0_S2_,@function
_ZN9rocsparseL17doti_kernel_part2ILj256EiEEvPT0_S2_: ; @_ZN9rocsparseL17doti_kernel_part2ILj256EiEEvPT0_S2_
; %bb.0:
	s_load_dwordx4 s[0:3], s[0:1], 0x0
	v_lshlrev_b32_e32 v1, 2, v0
	s_movk_i32 s4, 0x80
	v_cmp_gt_u32_e32 vcc, s4, v0
	s_waitcnt lgkmcnt(0)
	global_load_dword v2, v1, s[0:1]
	s_waitcnt vmcnt(0)
	ds_write_b32 v1, v2
	s_waitcnt lgkmcnt(0)
	s_barrier
	s_and_saveexec_b64 s[4:5], vcc
	s_cbranch_execz .LBB13_2
; %bb.1:
	ds_read2st64_b32 v[2:3], v1 offset1:2
	s_waitcnt lgkmcnt(0)
	v_add_u32_e32 v2, v3, v2
	ds_write_b32 v1, v2
.LBB13_2:
	s_or_b64 exec, exec, s[4:5]
	v_cmp_gt_u32_e32 vcc, 64, v0
	s_waitcnt lgkmcnt(0)
	s_barrier
	s_and_saveexec_b64 s[4:5], vcc
	s_cbranch_execz .LBB13_4
; %bb.3:
	ds_read2st64_b32 v[2:3], v1 offset1:1
	s_waitcnt lgkmcnt(0)
	v_add_u32_e32 v2, v3, v2
	ds_write_b32 v1, v2
.LBB13_4:
	s_or_b64 exec, exec, s[4:5]
	v_cmp_gt_u32_e32 vcc, 32, v0
	s_waitcnt lgkmcnt(0)
	s_barrier
	s_and_saveexec_b64 s[4:5], vcc
	s_cbranch_execz .LBB13_6
; %bb.5:
	ds_read2_b32 v[2:3], v1 offset1:32
	s_waitcnt lgkmcnt(0)
	v_add_u32_e32 v2, v3, v2
	ds_write_b32 v1, v2
.LBB13_6:
	s_or_b64 exec, exec, s[4:5]
	v_cmp_gt_u32_e32 vcc, 16, v0
	s_waitcnt lgkmcnt(0)
	s_barrier
	s_and_saveexec_b64 s[4:5], vcc
	s_cbranch_execz .LBB13_8
; %bb.7:
	ds_read2_b32 v[2:3], v1 offset1:16
	s_waitcnt lgkmcnt(0)
	v_add_u32_e32 v2, v3, v2
	ds_write_b32 v1, v2
.LBB13_8:
	;; [unrolled: 12-line block ×5, first 2 shown]
	s_or_b64 exec, exec, s[4:5]
	v_cmp_eq_u32_e32 vcc, 0, v0
	s_waitcnt lgkmcnt(0)
	s_barrier
	s_and_saveexec_b64 s[4:5], vcc
	s_cbranch_execz .LBB13_16
; %bb.15:
	v_mov_b32_e32 v2, 0
	ds_read_b64 v[0:1], v2
	s_waitcnt lgkmcnt(0)
	v_add_u32_e32 v0, v1, v0
	ds_write_b32 v2, v0
.LBB13_16:
	s_or_b64 exec, exec, s[4:5]
	s_waitcnt lgkmcnt(0)
	s_barrier
	s_and_saveexec_b64 s[4:5], vcc
	s_cbranch_execz .LBB13_18
; %bb.17:
	v_mov_b32_e32 v0, 0
	ds_read_b32 v1, v0
	s_cmp_eq_u64 s[2:3], 0
	s_cselect_b32 s1, s1, s3
	s_cselect_b32 s0, s0, s2
	s_waitcnt lgkmcnt(0)
	global_store_dword v0, v1, s[0:1]
.LBB13_18:
	s_endpgm
	.section	.rodata,"a",@progbits
	.p2align	6, 0x0
	.amdhsa_kernel _ZN9rocsparseL17doti_kernel_part2ILj256EiEEvPT0_S2_
		.amdhsa_group_segment_fixed_size 1024
		.amdhsa_private_segment_fixed_size 0
		.amdhsa_kernarg_size 16
		.amdhsa_user_sgpr_count 2
		.amdhsa_user_sgpr_dispatch_ptr 0
		.amdhsa_user_sgpr_queue_ptr 0
		.amdhsa_user_sgpr_kernarg_segment_ptr 1
		.amdhsa_user_sgpr_dispatch_id 0
		.amdhsa_user_sgpr_kernarg_preload_length 0
		.amdhsa_user_sgpr_kernarg_preload_offset 0
		.amdhsa_user_sgpr_private_segment_size 0
		.amdhsa_uses_dynamic_stack 0
		.amdhsa_enable_private_segment 0
		.amdhsa_system_sgpr_workgroup_id_x 1
		.amdhsa_system_sgpr_workgroup_id_y 0
		.amdhsa_system_sgpr_workgroup_id_z 0
		.amdhsa_system_sgpr_workgroup_info 0
		.amdhsa_system_vgpr_workitem_id 0
		.amdhsa_next_free_vgpr 4
		.amdhsa_next_free_sgpr 6
		.amdhsa_accum_offset 4
		.amdhsa_reserve_vcc 1
		.amdhsa_float_round_mode_32 0
		.amdhsa_float_round_mode_16_64 0
		.amdhsa_float_denorm_mode_32 3
		.amdhsa_float_denorm_mode_16_64 3
		.amdhsa_dx10_clamp 1
		.amdhsa_ieee_mode 1
		.amdhsa_fp16_overflow 0
		.amdhsa_tg_split 0
		.amdhsa_exception_fp_ieee_invalid_op 0
		.amdhsa_exception_fp_denorm_src 0
		.amdhsa_exception_fp_ieee_div_zero 0
		.amdhsa_exception_fp_ieee_overflow 0
		.amdhsa_exception_fp_ieee_underflow 0
		.amdhsa_exception_fp_ieee_inexact 0
		.amdhsa_exception_int_div_zero 0
	.end_amdhsa_kernel
	.section	.text._ZN9rocsparseL17doti_kernel_part2ILj256EiEEvPT0_S2_,"axG",@progbits,_ZN9rocsparseL17doti_kernel_part2ILj256EiEEvPT0_S2_,comdat
.Lfunc_end13:
	.size	_ZN9rocsparseL17doti_kernel_part2ILj256EiEEvPT0_S2_, .Lfunc_end13-_ZN9rocsparseL17doti_kernel_part2ILj256EiEEvPT0_S2_
                                        ; -- End function
	.set _ZN9rocsparseL17doti_kernel_part2ILj256EiEEvPT0_S2_.num_vgpr, 4
	.set _ZN9rocsparseL17doti_kernel_part2ILj256EiEEvPT0_S2_.num_agpr, 0
	.set _ZN9rocsparseL17doti_kernel_part2ILj256EiEEvPT0_S2_.numbered_sgpr, 6
	.set _ZN9rocsparseL17doti_kernel_part2ILj256EiEEvPT0_S2_.num_named_barrier, 0
	.set _ZN9rocsparseL17doti_kernel_part2ILj256EiEEvPT0_S2_.private_seg_size, 0
	.set _ZN9rocsparseL17doti_kernel_part2ILj256EiEEvPT0_S2_.uses_vcc, 1
	.set _ZN9rocsparseL17doti_kernel_part2ILj256EiEEvPT0_S2_.uses_flat_scratch, 0
	.set _ZN9rocsparseL17doti_kernel_part2ILj256EiEEvPT0_S2_.has_dyn_sized_stack, 0
	.set _ZN9rocsparseL17doti_kernel_part2ILj256EiEEvPT0_S2_.has_recursion, 0
	.set _ZN9rocsparseL17doti_kernel_part2ILj256EiEEvPT0_S2_.has_indirect_call, 0
	.section	.AMDGPU.csdata,"",@progbits
; Kernel info:
; codeLenInByte = 484
; TotalNumSgprs: 12
; NumVgprs: 4
; NumAgprs: 0
; TotalNumVgprs: 4
; ScratchSize: 0
; MemoryBound: 0
; FloatMode: 240
; IeeeMode: 1
; LDSByteSize: 1024 bytes/workgroup (compile time only)
; SGPRBlocks: 1
; VGPRBlocks: 0
; NumSGPRsForWavesPerEU: 12
; NumVGPRsForWavesPerEU: 4
; AccumOffset: 4
; Occupancy: 8
; WaveLimiterHint : 0
; COMPUTE_PGM_RSRC2:SCRATCH_EN: 0
; COMPUTE_PGM_RSRC2:USER_SGPR: 2
; COMPUTE_PGM_RSRC2:TRAP_HANDLER: 0
; COMPUTE_PGM_RSRC2:TGID_X_EN: 1
; COMPUTE_PGM_RSRC2:TGID_Y_EN: 0
; COMPUTE_PGM_RSRC2:TGID_Z_EN: 0
; COMPUTE_PGM_RSRC2:TIDIG_COMP_CNT: 0
; COMPUTE_PGM_RSRC3_GFX90A:ACCUM_OFFSET: 0
; COMPUTE_PGM_RSRC3_GFX90A:TG_SPLIT: 0
	.section	.text._ZN9rocsparseL17doti_kernel_part1ILj256ELj2ElaaiEEvT1_PKT2_PKS1_PKT3_PT4_21rocsparse_index_base_,"axG",@progbits,_ZN9rocsparseL17doti_kernel_part1ILj256ELj2ElaaiEEvT1_PKT2_PKS1_PKT3_PT4_21rocsparse_index_base_,comdat
	.globl	_ZN9rocsparseL17doti_kernel_part1ILj256ELj2ElaaiEEvT1_PKT2_PKS1_PKT3_PT4_21rocsparse_index_base_ ; -- Begin function _ZN9rocsparseL17doti_kernel_part1ILj256ELj2ElaaiEEvT1_PKT2_PKS1_PKT3_PT4_21rocsparse_index_base_
	.p2align	8
	.type	_ZN9rocsparseL17doti_kernel_part1ILj256ELj2ElaaiEEvT1_PKT2_PKS1_PKT3_PT4_21rocsparse_index_base_,@function
_ZN9rocsparseL17doti_kernel_part1ILj256ELj2ElaaiEEvT1_PKT2_PKS1_PKT3_PT4_21rocsparse_index_base_: ; @_ZN9rocsparseL17doti_kernel_part1ILj256ELj2ElaaiEEvT1_PKT2_PKS1_PKT3_PT4_21rocsparse_index_base_
; %bb.0:
	s_load_dwordx8 s[4:11], s[0:1], 0x0
	s_load_dwordx2 s[12:13], s[0:1], 0x20
	s_load_dword s3, s[0:1], 0x28
	s_load_dword s20, s[0:1], 0x30
	s_mov_b32 s1, 0
	s_lshl_b32 s14, s2, 8
	v_or_b32_e32 v1, s14, v0
	v_mov_b32_e32 v3, 0
	s_waitcnt lgkmcnt(0)
	s_lshl_b32 s0, s20, 9
	v_mov_b64_e32 v[4:5], s[0:1]
	v_cmp_le_i64_e32 vcc, s[4:5], v[4:5]
	s_mov_b64 s[18:19], s[0:1]
	s_cbranch_vccnz .LBB14_3
; %bb.1:
	v_add_u32_e32 v2, s14, v1
	v_mov_b32_e32 v3, 0
	v_lshl_add_u64 v[6:7], v[2:3], 3, s[8:9]
	s_mov_b64 s[14:15], 0x800
	v_lshl_add_u64 v[4:5], s[6:7], 0, v[2:3]
	v_lshl_add_u64 v[6:7], v[6:7], 0, s[14:15]
	s_lshl_b64 s[14:15], s[0:1], 3
	s_mov_b64 s[16:17], 0
	s_mov_b32 s1, 0xc0c0400
	v_mov_b64_e32 v[8:9], s[4:5]
.LBB14_2:                               ; =>This Inner Loop Header: Depth=1
	global_load_dwordx2 v[10:11], v[6:7], off offset:-2048
	global_load_dwordx2 v[12:13], v[6:7], off
	v_lshl_add_u64 v[14:15], v[4:5], 0, s[16:17]
	global_load_sbyte v2, v[14:15], off
	global_load_sbyte v16, v[14:15], off offset:256
	s_add_u32 s16, s16, s0
	s_addc_u32 s17, s17, 0
	s_add_u32 s18, s0, s16
	s_addc_u32 s19, 0, s17
	v_lshl_add_u64 v[6:7], v[6:7], 0, s[14:15]
	s_waitcnt vmcnt(3)
	v_subrev_co_u32_e32 v10, vcc, s3, v10
	s_nop 1
	v_subbrev_co_u32_e32 v11, vcc, 0, v11, vcc
	s_waitcnt vmcnt(2)
	v_subrev_co_u32_e32 v12, vcc, s3, v12
	v_lshl_add_u64 v[10:11], s[10:11], 0, v[10:11]
	s_nop 0
	v_subbrev_co_u32_e32 v13, vcc, 0, v13, vcc
	v_lshl_add_u64 v[12:13], s[10:11], 0, v[12:13]
	global_load_sbyte v14, v[10:11], off
	global_load_sbyte v15, v[12:13], off
	v_cmp_lt_i64_e32 vcc, s[18:19], v[8:9]
	s_waitcnt vmcnt(2)
	v_perm_b32 v2, v16, v2, s1
	s_waitcnt vmcnt(0)
	v_perm_b32 v10, v15, v14, s1
	v_dot4c_i32_i8_e32 v3, v2, v10
	s_cbranch_vccnz .LBB14_2
.LBB14_3:
	v_subrev_co_u32_e32 v4, vcc, s0, v1
	s_nop 1
	v_subb_co_u32_e64 v5, s[0:1], 0, 0, vcc
	v_lshl_add_u64 v[4:5], v[4:5], 0, s[18:19]
	v_cmp_gt_i64_e32 vcc, s[4:5], v[4:5]
	s_and_saveexec_b64 s[0:1], vcc
	s_cbranch_execz .LBB14_7
; %bb.4:
	s_mov_b32 s15, 0
	s_lshl_b32 s14, s20, 8
	v_lshl_add_u64 v[6:7], v[4:5], 3, s[8:9]
	s_lshl_b64 s[16:17], s[14:15], 3
	s_mov_b64 s[8:9], 0
.LBB14_5:                               ; =>This Inner Loop Header: Depth=1
	global_load_dwordx2 v[8:9], v[6:7], off
	v_lshl_add_u64 v[10:11], s[6:7], 0, v[4:5]
	global_load_sbyte v1, v[10:11], off
	v_lshl_add_u64 v[4:5], v[4:5], 0, s[14:15]
	v_lshl_add_u64 v[6:7], v[6:7], 0, s[16:17]
	s_waitcnt vmcnt(1)
	v_subrev_co_u32_e32 v8, vcc, s3, v8
	s_nop 1
	v_subbrev_co_u32_e32 v9, vcc, 0, v9, vcc
	v_lshl_add_u64 v[8:9], s[10:11], 0, v[8:9]
	global_load_sbyte v2, v[8:9], off
	v_cmp_le_i64_e32 vcc, s[4:5], v[4:5]
	s_or_b64 s[8:9], vcc, s[8:9]
	s_waitcnt vmcnt(0)
	v_mad_i32_i24 v3, v1, v2, v3
	s_andn2_b64 exec, exec, s[8:9]
	s_cbranch_execnz .LBB14_5
; %bb.6:
	s_or_b64 exec, exec, s[8:9]
.LBB14_7:
	s_or_b64 exec, exec, s[0:1]
	s_movk_i32 s0, 0x80
	v_lshlrev_b32_e32 v1, 2, v0
	v_cmp_gt_u32_e32 vcc, s0, v0
	ds_write_b32 v1, v3
	s_waitcnt lgkmcnt(0)
	s_barrier
	s_and_saveexec_b64 s[0:1], vcc
	s_cbranch_execz .LBB14_9
; %bb.8:
	ds_read2st64_b32 v[2:3], v1 offset1:2
	s_waitcnt lgkmcnt(0)
	v_add_u32_e32 v2, v3, v2
	ds_write_b32 v1, v2
.LBB14_9:
	s_or_b64 exec, exec, s[0:1]
	v_cmp_gt_u32_e32 vcc, 64, v0
	s_waitcnt lgkmcnt(0)
	s_barrier
	s_and_saveexec_b64 s[0:1], vcc
	s_cbranch_execz .LBB14_11
; %bb.10:
	ds_read2st64_b32 v[2:3], v1 offset1:1
	s_waitcnt lgkmcnt(0)
	v_add_u32_e32 v2, v3, v2
	ds_write_b32 v1, v2
.LBB14_11:
	s_or_b64 exec, exec, s[0:1]
	v_cmp_gt_u32_e32 vcc, 32, v0
	s_waitcnt lgkmcnt(0)
	s_barrier
	s_and_saveexec_b64 s[0:1], vcc
	s_cbranch_execz .LBB14_13
; %bb.12:
	ds_read2_b32 v[2:3], v1 offset1:32
	s_waitcnt lgkmcnt(0)
	v_add_u32_e32 v2, v3, v2
	ds_write_b32 v1, v2
.LBB14_13:
	s_or_b64 exec, exec, s[0:1]
	v_cmp_gt_u32_e32 vcc, 16, v0
	s_waitcnt lgkmcnt(0)
	s_barrier
	s_and_saveexec_b64 s[0:1], vcc
	s_cbranch_execz .LBB14_15
; %bb.14:
	ds_read2_b32 v[2:3], v1 offset1:16
	s_waitcnt lgkmcnt(0)
	v_add_u32_e32 v2, v3, v2
	ds_write_b32 v1, v2
.LBB14_15:
	;; [unrolled: 12-line block ×5, first 2 shown]
	s_or_b64 exec, exec, s[0:1]
	v_cmp_eq_u32_e32 vcc, 0, v0
	s_waitcnt lgkmcnt(0)
	s_barrier
	s_and_saveexec_b64 s[0:1], vcc
	s_cbranch_execz .LBB14_23
; %bb.22:
	v_mov_b32_e32 v2, 0
	ds_read_b64 v[0:1], v2
	s_waitcnt lgkmcnt(0)
	v_add_u32_e32 v0, v1, v0
	ds_write_b32 v2, v0
.LBB14_23:
	s_or_b64 exec, exec, s[0:1]
	s_waitcnt lgkmcnt(0)
	s_barrier
	s_and_saveexec_b64 s[0:1], vcc
	s_cbranch_execz .LBB14_25
; %bb.24:
	v_mov_b32_e32 v0, 0
	ds_read_b32 v1, v0
	s_mov_b32 s3, 0
	s_lshl_b64 s[0:1], s[2:3], 2
	s_add_u32 s0, s12, s0
	s_addc_u32 s1, s13, s1
	s_waitcnt lgkmcnt(0)
	global_store_dword v0, v1, s[0:1]
.LBB14_25:
	s_endpgm
	.section	.rodata,"a",@progbits
	.p2align	6, 0x0
	.amdhsa_kernel _ZN9rocsparseL17doti_kernel_part1ILj256ELj2ElaaiEEvT1_PKT2_PKS1_PKT3_PT4_21rocsparse_index_base_
		.amdhsa_group_segment_fixed_size 1024
		.amdhsa_private_segment_fixed_size 0
		.amdhsa_kernarg_size 304
		.amdhsa_user_sgpr_count 2
		.amdhsa_user_sgpr_dispatch_ptr 0
		.amdhsa_user_sgpr_queue_ptr 0
		.amdhsa_user_sgpr_kernarg_segment_ptr 1
		.amdhsa_user_sgpr_dispatch_id 0
		.amdhsa_user_sgpr_kernarg_preload_length 0
		.amdhsa_user_sgpr_kernarg_preload_offset 0
		.amdhsa_user_sgpr_private_segment_size 0
		.amdhsa_uses_dynamic_stack 0
		.amdhsa_enable_private_segment 0
		.amdhsa_system_sgpr_workgroup_id_x 1
		.amdhsa_system_sgpr_workgroup_id_y 0
		.amdhsa_system_sgpr_workgroup_id_z 0
		.amdhsa_system_sgpr_workgroup_info 0
		.amdhsa_system_vgpr_workitem_id 0
		.amdhsa_next_free_vgpr 17
		.amdhsa_next_free_sgpr 21
		.amdhsa_accum_offset 20
		.amdhsa_reserve_vcc 1
		.amdhsa_float_round_mode_32 0
		.amdhsa_float_round_mode_16_64 0
		.amdhsa_float_denorm_mode_32 3
		.amdhsa_float_denorm_mode_16_64 3
		.amdhsa_dx10_clamp 1
		.amdhsa_ieee_mode 1
		.amdhsa_fp16_overflow 0
		.amdhsa_tg_split 0
		.amdhsa_exception_fp_ieee_invalid_op 0
		.amdhsa_exception_fp_denorm_src 0
		.amdhsa_exception_fp_ieee_div_zero 0
		.amdhsa_exception_fp_ieee_overflow 0
		.amdhsa_exception_fp_ieee_underflow 0
		.amdhsa_exception_fp_ieee_inexact 0
		.amdhsa_exception_int_div_zero 0
	.end_amdhsa_kernel
	.section	.text._ZN9rocsparseL17doti_kernel_part1ILj256ELj2ElaaiEEvT1_PKT2_PKS1_PKT3_PT4_21rocsparse_index_base_,"axG",@progbits,_ZN9rocsparseL17doti_kernel_part1ILj256ELj2ElaaiEEvT1_PKT2_PKS1_PKT3_PT4_21rocsparse_index_base_,comdat
.Lfunc_end14:
	.size	_ZN9rocsparseL17doti_kernel_part1ILj256ELj2ElaaiEEvT1_PKT2_PKS1_PKT3_PT4_21rocsparse_index_base_, .Lfunc_end14-_ZN9rocsparseL17doti_kernel_part1ILj256ELj2ElaaiEEvT1_PKT2_PKS1_PKT3_PT4_21rocsparse_index_base_
                                        ; -- End function
	.set _ZN9rocsparseL17doti_kernel_part1ILj256ELj2ElaaiEEvT1_PKT2_PKS1_PKT3_PT4_21rocsparse_index_base_.num_vgpr, 17
	.set _ZN9rocsparseL17doti_kernel_part1ILj256ELj2ElaaiEEvT1_PKT2_PKS1_PKT3_PT4_21rocsparse_index_base_.num_agpr, 0
	.set _ZN9rocsparseL17doti_kernel_part1ILj256ELj2ElaaiEEvT1_PKT2_PKS1_PKT3_PT4_21rocsparse_index_base_.numbered_sgpr, 21
	.set _ZN9rocsparseL17doti_kernel_part1ILj256ELj2ElaaiEEvT1_PKT2_PKS1_PKT3_PT4_21rocsparse_index_base_.num_named_barrier, 0
	.set _ZN9rocsparseL17doti_kernel_part1ILj256ELj2ElaaiEEvT1_PKT2_PKS1_PKT3_PT4_21rocsparse_index_base_.private_seg_size, 0
	.set _ZN9rocsparseL17doti_kernel_part1ILj256ELj2ElaaiEEvT1_PKT2_PKS1_PKT3_PT4_21rocsparse_index_base_.uses_vcc, 1
	.set _ZN9rocsparseL17doti_kernel_part1ILj256ELj2ElaaiEEvT1_PKT2_PKS1_PKT3_PT4_21rocsparse_index_base_.uses_flat_scratch, 0
	.set _ZN9rocsparseL17doti_kernel_part1ILj256ELj2ElaaiEEvT1_PKT2_PKS1_PKT3_PT4_21rocsparse_index_base_.has_dyn_sized_stack, 0
	.set _ZN9rocsparseL17doti_kernel_part1ILj256ELj2ElaaiEEvT1_PKT2_PKS1_PKT3_PT4_21rocsparse_index_base_.has_recursion, 0
	.set _ZN9rocsparseL17doti_kernel_part1ILj256ELj2ElaaiEEvT1_PKT2_PKS1_PKT3_PT4_21rocsparse_index_base_.has_indirect_call, 0
	.section	.AMDGPU.csdata,"",@progbits
; Kernel info:
; codeLenInByte = 928
; TotalNumSgprs: 27
; NumVgprs: 17
; NumAgprs: 0
; TotalNumVgprs: 17
; ScratchSize: 0
; MemoryBound: 0
; FloatMode: 240
; IeeeMode: 1
; LDSByteSize: 1024 bytes/workgroup (compile time only)
; SGPRBlocks: 3
; VGPRBlocks: 2
; NumSGPRsForWavesPerEU: 27
; NumVGPRsForWavesPerEU: 17
; AccumOffset: 20
; Occupancy: 8
; WaveLimiterHint : 1
; COMPUTE_PGM_RSRC2:SCRATCH_EN: 0
; COMPUTE_PGM_RSRC2:USER_SGPR: 2
; COMPUTE_PGM_RSRC2:TRAP_HANDLER: 0
; COMPUTE_PGM_RSRC2:TGID_X_EN: 1
; COMPUTE_PGM_RSRC2:TGID_Y_EN: 0
; COMPUTE_PGM_RSRC2:TGID_Z_EN: 0
; COMPUTE_PGM_RSRC2:TIDIG_COMP_CNT: 0
; COMPUTE_PGM_RSRC3_GFX90A:ACCUM_OFFSET: 4
; COMPUTE_PGM_RSRC3_GFX90A:TG_SPLIT: 0
	.section	.text._ZN9rocsparseL17doti_kernel_part1ILj256ELj2EiDF16_DF16_fEEvT1_PKT2_PKS1_PKT3_PT4_21rocsparse_index_base_,"axG",@progbits,_ZN9rocsparseL17doti_kernel_part1ILj256ELj2EiDF16_DF16_fEEvT1_PKT2_PKS1_PKT3_PT4_21rocsparse_index_base_,comdat
	.globl	_ZN9rocsparseL17doti_kernel_part1ILj256ELj2EiDF16_DF16_fEEvT1_PKT2_PKS1_PKT3_PT4_21rocsparse_index_base_ ; -- Begin function _ZN9rocsparseL17doti_kernel_part1ILj256ELj2EiDF16_DF16_fEEvT1_PKT2_PKS1_PKT3_PT4_21rocsparse_index_base_
	.p2align	8
	.type	_ZN9rocsparseL17doti_kernel_part1ILj256ELj2EiDF16_DF16_fEEvT1_PKT2_PKS1_PKT3_PT4_21rocsparse_index_base_,@function
_ZN9rocsparseL17doti_kernel_part1ILj256ELj2EiDF16_DF16_fEEvT1_PKT2_PKS1_PKT3_PT4_21rocsparse_index_base_: ; @_ZN9rocsparseL17doti_kernel_part1ILj256ELj2EiDF16_DF16_fEEvT1_PKT2_PKS1_PKT3_PT4_21rocsparse_index_base_
; %bb.0:
	s_load_dword s12, s[0:1], 0x30
	s_load_dword s3, s[0:1], 0x0
	;; [unrolled: 1-line block ×3, first 2 shown]
	s_load_dwordx8 s[4:11], s[0:1], 0x8
	v_mov_b32_e32 v1, 0
	s_waitcnt lgkmcnt(0)
	s_lshl_b32 s0, s12, 9
	s_cmp_ge_i32 s0, s3
	s_mov_b32 s13, s0
	s_cbranch_scc1 .LBB15_3
; %bb.1:
	v_lshl_or_b32 v4, s2, 9, v0
	v_mov_b32_e32 v3, 0
	s_mov_b32 s1, 0
	v_mov_b32_e32 v1, 0
.LBB15_2:                               ; =>This Inner Loop Header: Depth=1
	v_add_u32_e32 v2, s1, v4
	v_lshl_add_u64 v[6:7], v[2:3], 2, s[6:7]
	v_lshl_add_u64 v[8:9], v[2:3], 1, s[4:5]
	v_add_u32_e32 v2, 0x100, v2
	global_load_dword v5, v[6:7], off
	v_lshl_add_u64 v[6:7], v[2:3], 2, s[6:7]
	global_load_dword v10, v[6:7], off
	global_load_ushort v11, v[8:9], off
	v_lshl_add_u64 v[6:7], v[2:3], 1, s[4:5]
	global_load_ushort v2, v[6:7], off
	s_add_i32 s1, s1, s0
	s_add_i32 s13, s0, s1
	s_cmp_lt_i32 s13, s3
	s_waitcnt vmcnt(3)
	v_subrev_u32_e32 v6, s14, v5
	v_ashrrev_i32_e32 v7, 31, v6
	s_waitcnt vmcnt(2)
	v_subrev_u32_e32 v8, s14, v10
	v_lshl_add_u64 v[6:7], v[6:7], 1, s[8:9]
	v_ashrrev_i32_e32 v9, 31, v8
	global_load_ushort v5, v[6:7], off
	v_lshl_add_u64 v[6:7], v[8:9], 1, s[8:9]
	global_load_ushort v6, v[6:7], off
	s_waitcnt vmcnt(1)
	v_fma_mix_f32 v1, v5, v11, v1 op_sel_hi:[1,1,0]
	s_waitcnt vmcnt(0)
	v_fma_mix_f32 v1, v6, v2, v1 op_sel_hi:[1,1,0]
	s_cbranch_scc1 .LBB15_2
.LBB15_3:
	v_lshl_or_b32 v2, s2, 8, v0
	v_subrev_u32_e32 v2, s0, v2
	v_add_u32_e32 v2, s13, v2
	v_cmp_gt_i32_e32 vcc, s3, v2
	s_and_saveexec_b64 s[0:1], vcc
	s_cbranch_execz .LBB15_7
; %bb.4:
	s_lshl_b32 s15, s12, 8
	s_mov_b64 s[12:13], 0
.LBB15_5:                               ; =>This Inner Loop Header: Depth=1
	v_ashrrev_i32_e32 v3, 31, v2
	v_lshl_add_u64 v[4:5], v[2:3], 2, s[6:7]
	global_load_dword v6, v[4:5], off
	v_lshl_add_u64 v[4:5], v[2:3], 1, s[4:5]
	v_add_u32_e32 v2, s15, v2
	v_cmp_le_i32_e32 vcc, s3, v2
	s_or_b64 s[12:13], vcc, s[12:13]
	s_waitcnt vmcnt(0)
	v_subrev_u32_e32 v6, s14, v6
	v_ashrrev_i32_e32 v7, 31, v6
	v_lshl_add_u64 v[6:7], v[6:7], 1, s[8:9]
	global_load_ushort v3, v[6:7], off
	global_load_ushort v8, v[4:5], off
	s_waitcnt vmcnt(0)
	v_fma_mix_f32 v1, v3, v8, v1 op_sel_hi:[1,1,0]
	s_andn2_b64 exec, exec, s[12:13]
	s_cbranch_execnz .LBB15_5
; %bb.6:
	s_or_b64 exec, exec, s[12:13]
.LBB15_7:
	s_or_b64 exec, exec, s[0:1]
	s_movk_i32 s0, 0x80
	v_lshlrev_b32_e32 v2, 2, v0
	v_cmp_gt_u32_e32 vcc, s0, v0
	ds_write_b32 v2, v1
	s_waitcnt lgkmcnt(0)
	s_barrier
	s_and_saveexec_b64 s[0:1], vcc
	s_cbranch_execz .LBB15_9
; %bb.8:
	ds_read2st64_b32 v[4:5], v2 offset1:2
	s_waitcnt lgkmcnt(0)
	v_add_f32_e32 v1, v4, v5
	ds_write_b32 v2, v1
.LBB15_9:
	s_or_b64 exec, exec, s[0:1]
	v_cmp_gt_u32_e32 vcc, 64, v0
	s_waitcnt lgkmcnt(0)
	s_barrier
	s_and_saveexec_b64 s[0:1], vcc
	s_cbranch_execz .LBB15_11
; %bb.10:
	ds_read2st64_b32 v[4:5], v2 offset1:1
	s_waitcnt lgkmcnt(0)
	v_add_f32_e32 v1, v4, v5
	ds_write_b32 v2, v1
.LBB15_11:
	s_or_b64 exec, exec, s[0:1]
	v_cmp_gt_u32_e32 vcc, 32, v0
	s_waitcnt lgkmcnt(0)
	s_barrier
	s_and_saveexec_b64 s[0:1], vcc
	s_cbranch_execz .LBB15_13
; %bb.12:
	ds_read2_b32 v[4:5], v2 offset1:32
	s_waitcnt lgkmcnt(0)
	v_add_f32_e32 v1, v4, v5
	ds_write_b32 v2, v1
.LBB15_13:
	s_or_b64 exec, exec, s[0:1]
	v_cmp_gt_u32_e32 vcc, 16, v0
	s_waitcnt lgkmcnt(0)
	s_barrier
	s_and_saveexec_b64 s[0:1], vcc
	s_cbranch_execz .LBB15_15
; %bb.14:
	ds_read2_b32 v[4:5], v2 offset1:16
	s_waitcnt lgkmcnt(0)
	v_add_f32_e32 v1, v4, v5
	ds_write_b32 v2, v1
.LBB15_15:
	;; [unrolled: 12-line block ×5, first 2 shown]
	s_or_b64 exec, exec, s[0:1]
	v_cmp_eq_u32_e32 vcc, 0, v0
	s_waitcnt lgkmcnt(0)
	s_barrier
	s_and_saveexec_b64 s[0:1], vcc
	s_cbranch_execz .LBB15_23
; %bb.22:
	v_mov_b32_e32 v2, 0
	ds_read_b64 v[0:1], v2
	s_waitcnt lgkmcnt(0)
	v_add_f32_e32 v0, v0, v1
	ds_write_b32 v2, v0
.LBB15_23:
	s_or_b64 exec, exec, s[0:1]
	s_waitcnt lgkmcnt(0)
	s_barrier
	s_and_saveexec_b64 s[0:1], vcc
	s_cbranch_execz .LBB15_25
; %bb.24:
	v_mov_b32_e32 v0, 0
	ds_read_b32 v1, v0
	s_mov_b32 s3, 0
	s_lshl_b64 s[0:1], s[2:3], 2
	s_add_u32 s0, s10, s0
	s_addc_u32 s1, s11, s1
	s_waitcnt lgkmcnt(0)
	global_store_dword v0, v1, s[0:1]
.LBB15_25:
	s_endpgm
	.section	.rodata,"a",@progbits
	.p2align	6, 0x0
	.amdhsa_kernel _ZN9rocsparseL17doti_kernel_part1ILj256ELj2EiDF16_DF16_fEEvT1_PKT2_PKS1_PKT3_PT4_21rocsparse_index_base_
		.amdhsa_group_segment_fixed_size 1024
		.amdhsa_private_segment_fixed_size 0
		.amdhsa_kernarg_size 304
		.amdhsa_user_sgpr_count 2
		.amdhsa_user_sgpr_dispatch_ptr 0
		.amdhsa_user_sgpr_queue_ptr 0
		.amdhsa_user_sgpr_kernarg_segment_ptr 1
		.amdhsa_user_sgpr_dispatch_id 0
		.amdhsa_user_sgpr_kernarg_preload_length 0
		.amdhsa_user_sgpr_kernarg_preload_offset 0
		.amdhsa_user_sgpr_private_segment_size 0
		.amdhsa_uses_dynamic_stack 0
		.amdhsa_enable_private_segment 0
		.amdhsa_system_sgpr_workgroup_id_x 1
		.amdhsa_system_sgpr_workgroup_id_y 0
		.amdhsa_system_sgpr_workgroup_id_z 0
		.amdhsa_system_sgpr_workgroup_info 0
		.amdhsa_system_vgpr_workitem_id 0
		.amdhsa_next_free_vgpr 12
		.amdhsa_next_free_sgpr 16
		.amdhsa_accum_offset 12
		.amdhsa_reserve_vcc 1
		.amdhsa_float_round_mode_32 0
		.amdhsa_float_round_mode_16_64 0
		.amdhsa_float_denorm_mode_32 3
		.amdhsa_float_denorm_mode_16_64 3
		.amdhsa_dx10_clamp 1
		.amdhsa_ieee_mode 1
		.amdhsa_fp16_overflow 0
		.amdhsa_tg_split 0
		.amdhsa_exception_fp_ieee_invalid_op 0
		.amdhsa_exception_fp_denorm_src 0
		.amdhsa_exception_fp_ieee_div_zero 0
		.amdhsa_exception_fp_ieee_overflow 0
		.amdhsa_exception_fp_ieee_underflow 0
		.amdhsa_exception_fp_ieee_inexact 0
		.amdhsa_exception_int_div_zero 0
	.end_amdhsa_kernel
	.section	.text._ZN9rocsparseL17doti_kernel_part1ILj256ELj2EiDF16_DF16_fEEvT1_PKT2_PKS1_PKT3_PT4_21rocsparse_index_base_,"axG",@progbits,_ZN9rocsparseL17doti_kernel_part1ILj256ELj2EiDF16_DF16_fEEvT1_PKT2_PKS1_PKT3_PT4_21rocsparse_index_base_,comdat
.Lfunc_end15:
	.size	_ZN9rocsparseL17doti_kernel_part1ILj256ELj2EiDF16_DF16_fEEvT1_PKT2_PKS1_PKT3_PT4_21rocsparse_index_base_, .Lfunc_end15-_ZN9rocsparseL17doti_kernel_part1ILj256ELj2EiDF16_DF16_fEEvT1_PKT2_PKS1_PKT3_PT4_21rocsparse_index_base_
                                        ; -- End function
	.set _ZN9rocsparseL17doti_kernel_part1ILj256ELj2EiDF16_DF16_fEEvT1_PKT2_PKS1_PKT3_PT4_21rocsparse_index_base_.num_vgpr, 12
	.set _ZN9rocsparseL17doti_kernel_part1ILj256ELj2EiDF16_DF16_fEEvT1_PKT2_PKS1_PKT3_PT4_21rocsparse_index_base_.num_agpr, 0
	.set _ZN9rocsparseL17doti_kernel_part1ILj256ELj2EiDF16_DF16_fEEvT1_PKT2_PKS1_PKT3_PT4_21rocsparse_index_base_.numbered_sgpr, 16
	.set _ZN9rocsparseL17doti_kernel_part1ILj256ELj2EiDF16_DF16_fEEvT1_PKT2_PKS1_PKT3_PT4_21rocsparse_index_base_.num_named_barrier, 0
	.set _ZN9rocsparseL17doti_kernel_part1ILj256ELj2EiDF16_DF16_fEEvT1_PKT2_PKS1_PKT3_PT4_21rocsparse_index_base_.private_seg_size, 0
	.set _ZN9rocsparseL17doti_kernel_part1ILj256ELj2EiDF16_DF16_fEEvT1_PKT2_PKS1_PKT3_PT4_21rocsparse_index_base_.uses_vcc, 1
	.set _ZN9rocsparseL17doti_kernel_part1ILj256ELj2EiDF16_DF16_fEEvT1_PKT2_PKS1_PKT3_PT4_21rocsparse_index_base_.uses_flat_scratch, 0
	.set _ZN9rocsparseL17doti_kernel_part1ILj256ELj2EiDF16_DF16_fEEvT1_PKT2_PKS1_PKT3_PT4_21rocsparse_index_base_.has_dyn_sized_stack, 0
	.set _ZN9rocsparseL17doti_kernel_part1ILj256ELj2EiDF16_DF16_fEEvT1_PKT2_PKS1_PKT3_PT4_21rocsparse_index_base_.has_recursion, 0
	.set _ZN9rocsparseL17doti_kernel_part1ILj256ELj2EiDF16_DF16_fEEvT1_PKT2_PKS1_PKT3_PT4_21rocsparse_index_base_.has_indirect_call, 0
	.section	.AMDGPU.csdata,"",@progbits
; Kernel info:
; codeLenInByte = 852
; TotalNumSgprs: 22
; NumVgprs: 12
; NumAgprs: 0
; TotalNumVgprs: 12
; ScratchSize: 0
; MemoryBound: 0
; FloatMode: 240
; IeeeMode: 1
; LDSByteSize: 1024 bytes/workgroup (compile time only)
; SGPRBlocks: 2
; VGPRBlocks: 1
; NumSGPRsForWavesPerEU: 22
; NumVGPRsForWavesPerEU: 12
; AccumOffset: 12
; Occupancy: 8
; WaveLimiterHint : 1
; COMPUTE_PGM_RSRC2:SCRATCH_EN: 0
; COMPUTE_PGM_RSRC2:USER_SGPR: 2
; COMPUTE_PGM_RSRC2:TRAP_HANDLER: 0
; COMPUTE_PGM_RSRC2:TGID_X_EN: 1
; COMPUTE_PGM_RSRC2:TGID_Y_EN: 0
; COMPUTE_PGM_RSRC2:TGID_Z_EN: 0
; COMPUTE_PGM_RSRC2:TIDIG_COMP_CNT: 0
; COMPUTE_PGM_RSRC3_GFX90A:ACCUM_OFFSET: 2
; COMPUTE_PGM_RSRC3_GFX90A:TG_SPLIT: 0
	.section	.text._ZN9rocsparseL17doti_kernel_part1ILj256ELj2ElDF16_DF16_fEEvT1_PKT2_PKS1_PKT3_PT4_21rocsparse_index_base_,"axG",@progbits,_ZN9rocsparseL17doti_kernel_part1ILj256ELj2ElDF16_DF16_fEEvT1_PKT2_PKS1_PKT3_PT4_21rocsparse_index_base_,comdat
	.globl	_ZN9rocsparseL17doti_kernel_part1ILj256ELj2ElDF16_DF16_fEEvT1_PKT2_PKS1_PKT3_PT4_21rocsparse_index_base_ ; -- Begin function _ZN9rocsparseL17doti_kernel_part1ILj256ELj2ElDF16_DF16_fEEvT1_PKT2_PKS1_PKT3_PT4_21rocsparse_index_base_
	.p2align	8
	.type	_ZN9rocsparseL17doti_kernel_part1ILj256ELj2ElDF16_DF16_fEEvT1_PKT2_PKS1_PKT3_PT4_21rocsparse_index_base_,@function
_ZN9rocsparseL17doti_kernel_part1ILj256ELj2ElDF16_DF16_fEEvT1_PKT2_PKS1_PKT3_PT4_21rocsparse_index_base_: ; @_ZN9rocsparseL17doti_kernel_part1ILj256ELj2ElDF16_DF16_fEEvT1_PKT2_PKS1_PKT3_PT4_21rocsparse_index_base_
; %bb.0:
	s_load_dwordx8 s[4:11], s[0:1], 0x0
	s_load_dwordx2 s[12:13], s[0:1], 0x20
	s_load_dword s3, s[0:1], 0x28
	s_load_dword s20, s[0:1], 0x30
	s_mov_b32 s1, 0
	s_lshl_b32 s14, s2, 8
	v_or_b32_e32 v1, s14, v0
	v_mov_b32_e32 v3, 0
	s_waitcnt lgkmcnt(0)
	s_lshl_b32 s0, s20, 9
	v_mov_b64_e32 v[4:5], s[0:1]
	v_cmp_le_i64_e32 vcc, s[4:5], v[4:5]
	s_cbranch_vccnz .LBB16_3
; %bb.1:
	v_add_u32_e32 v2, s14, v1
	v_mov_b32_e32 v3, 0
	v_lshl_add_u64 v[4:5], v[2:3], 1, s[6:7]
	s_mov_b64 s[14:15], 0x200
	v_lshl_add_u64 v[4:5], v[4:5], 0, s[14:15]
	v_lshl_add_u64 v[6:7], v[2:3], 3, s[8:9]
	s_mov_b64 s[14:15], 0x800
	s_lshl_b64 s[16:17], s[0:1], 1
	v_lshl_add_u64 v[6:7], v[6:7], 0, s[14:15]
	s_lshl_b64 s[18:19], s[0:1], 3
	v_mov_b64_e32 v[8:9], s[4:5]
	s_mov_b64 s[14:15], s[0:1]
.LBB16_2:                               ; =>This Inner Loop Header: Depth=1
	global_load_dwordx2 v[10:11], v[6:7], off offset:-2048
	global_load_dwordx2 v[12:13], v[6:7], off
	global_load_ushort v2, v[4:5], off offset:-512
	global_load_ushort v14, v[4:5], off
	s_add_u32 s14, s14, s0
	s_addc_u32 s15, s15, 0
	v_lshl_add_u64 v[4:5], v[4:5], 0, s[16:17]
	v_lshl_add_u64 v[6:7], v[6:7], 0, s[18:19]
	s_waitcnt vmcnt(3)
	v_subrev_co_u32_e32 v10, vcc, s3, v10
	s_nop 1
	v_subbrev_co_u32_e32 v11, vcc, 0, v11, vcc
	s_waitcnt vmcnt(2)
	v_subrev_co_u32_e32 v12, vcc, s3, v12
	v_lshl_add_u64 v[10:11], v[10:11], 1, s[10:11]
	s_nop 0
	v_subbrev_co_u32_e32 v13, vcc, 0, v13, vcc
	v_lshl_add_u64 v[12:13], v[12:13], 1, s[10:11]
	global_load_ushort v15, v[10:11], off
	global_load_ushort v16, v[12:13], off
	v_cmp_lt_i64_e32 vcc, s[14:15], v[8:9]
	s_and_b64 vcc, exec, vcc
	s_waitcnt vmcnt(1)
	v_fma_mix_f32 v2, v15, v2, v3 op_sel_hi:[1,1,0]
	s_waitcnt vmcnt(0)
	v_fma_mix_f32 v3, v16, v14, v2 op_sel_hi:[1,1,0]
	s_cbranch_vccnz .LBB16_2
	s_branch .LBB16_4
.LBB16_3:
	s_mov_b64 s[14:15], s[0:1]
.LBB16_4:
	v_subrev_co_u32_e32 v4, vcc, s0, v1
	s_nop 1
	v_subb_co_u32_e64 v5, s[0:1], 0, 0, vcc
	v_lshl_add_u64 v[4:5], v[4:5], 0, s[14:15]
	v_cmp_gt_i64_e32 vcc, s[4:5], v[4:5]
	s_and_saveexec_b64 s[0:1], vcc
	s_cbranch_execz .LBB16_8
; %bb.5:
	s_mov_b32 s15, 0
	s_lshl_b32 s14, s20, 8
	v_lshl_add_u64 v[6:7], v[4:5], 1, s[6:7]
	s_lshl_b64 s[6:7], s[14:15], 1
	v_lshl_add_u64 v[8:9], v[4:5], 3, s[8:9]
	s_lshl_b64 s[16:17], s[14:15], 3
	s_mov_b64 s[8:9], 0
.LBB16_6:                               ; =>This Inner Loop Header: Depth=1
	global_load_dwordx2 v[10:11], v[8:9], off
	global_load_ushort v1, v[6:7], off
	v_lshl_add_u64 v[4:5], v[4:5], 0, s[14:15]
	v_lshl_add_u64 v[6:7], v[6:7], 0, s[6:7]
	;; [unrolled: 1-line block ×3, first 2 shown]
	s_waitcnt vmcnt(1)
	v_subrev_co_u32_e32 v10, vcc, s3, v10
	s_nop 1
	v_subbrev_co_u32_e32 v11, vcc, 0, v11, vcc
	v_lshl_add_u64 v[10:11], v[10:11], 1, s[10:11]
	global_load_ushort v2, v[10:11], off
	v_cmp_le_i64_e32 vcc, s[4:5], v[4:5]
	s_or_b64 s[8:9], vcc, s[8:9]
	s_waitcnt vmcnt(0)
	v_fma_mix_f32 v3, v2, v1, v3 op_sel_hi:[1,1,0]
	s_andn2_b64 exec, exec, s[8:9]
	s_cbranch_execnz .LBB16_6
; %bb.7:
	s_or_b64 exec, exec, s[8:9]
.LBB16_8:
	s_or_b64 exec, exec, s[0:1]
	s_movk_i32 s0, 0x80
	v_lshlrev_b32_e32 v1, 2, v0
	v_cmp_gt_u32_e32 vcc, s0, v0
	ds_write_b32 v1, v3
	s_waitcnt lgkmcnt(0)
	s_barrier
	s_and_saveexec_b64 s[0:1], vcc
	s_cbranch_execz .LBB16_10
; %bb.9:
	ds_read2st64_b32 v[2:3], v1 offset1:2
	s_waitcnt lgkmcnt(0)
	v_add_f32_e32 v2, v2, v3
	ds_write_b32 v1, v2
.LBB16_10:
	s_or_b64 exec, exec, s[0:1]
	v_cmp_gt_u32_e32 vcc, 64, v0
	s_waitcnt lgkmcnt(0)
	s_barrier
	s_and_saveexec_b64 s[0:1], vcc
	s_cbranch_execz .LBB16_12
; %bb.11:
	ds_read2st64_b32 v[2:3], v1 offset1:1
	s_waitcnt lgkmcnt(0)
	v_add_f32_e32 v2, v2, v3
	ds_write_b32 v1, v2
.LBB16_12:
	s_or_b64 exec, exec, s[0:1]
	v_cmp_gt_u32_e32 vcc, 32, v0
	s_waitcnt lgkmcnt(0)
	s_barrier
	s_and_saveexec_b64 s[0:1], vcc
	s_cbranch_execz .LBB16_14
; %bb.13:
	ds_read2_b32 v[2:3], v1 offset1:32
	s_waitcnt lgkmcnt(0)
	v_add_f32_e32 v2, v2, v3
	ds_write_b32 v1, v2
.LBB16_14:
	s_or_b64 exec, exec, s[0:1]
	v_cmp_gt_u32_e32 vcc, 16, v0
	s_waitcnt lgkmcnt(0)
	s_barrier
	s_and_saveexec_b64 s[0:1], vcc
	s_cbranch_execz .LBB16_16
; %bb.15:
	ds_read2_b32 v[2:3], v1 offset1:16
	s_waitcnt lgkmcnt(0)
	v_add_f32_e32 v2, v2, v3
	ds_write_b32 v1, v2
.LBB16_16:
	;; [unrolled: 12-line block ×5, first 2 shown]
	s_or_b64 exec, exec, s[0:1]
	v_cmp_eq_u32_e32 vcc, 0, v0
	s_waitcnt lgkmcnt(0)
	s_barrier
	s_and_saveexec_b64 s[0:1], vcc
	s_cbranch_execz .LBB16_24
; %bb.23:
	v_mov_b32_e32 v2, 0
	ds_read_b64 v[0:1], v2
	s_waitcnt lgkmcnt(0)
	v_add_f32_e32 v0, v0, v1
	ds_write_b32 v2, v0
.LBB16_24:
	s_or_b64 exec, exec, s[0:1]
	s_waitcnt lgkmcnt(0)
	s_barrier
	s_and_saveexec_b64 s[0:1], vcc
	s_cbranch_execz .LBB16_26
; %bb.25:
	v_mov_b32_e32 v0, 0
	ds_read_b32 v1, v0
	s_mov_b32 s3, 0
	s_lshl_b64 s[0:1], s[2:3], 2
	s_add_u32 s0, s12, s0
	s_addc_u32 s1, s13, s1
	s_waitcnt lgkmcnt(0)
	global_store_dword v0, v1, s[0:1]
.LBB16_26:
	s_endpgm
	.section	.rodata,"a",@progbits
	.p2align	6, 0x0
	.amdhsa_kernel _ZN9rocsparseL17doti_kernel_part1ILj256ELj2ElDF16_DF16_fEEvT1_PKT2_PKS1_PKT3_PT4_21rocsparse_index_base_
		.amdhsa_group_segment_fixed_size 1024
		.amdhsa_private_segment_fixed_size 0
		.amdhsa_kernarg_size 304
		.amdhsa_user_sgpr_count 2
		.amdhsa_user_sgpr_dispatch_ptr 0
		.amdhsa_user_sgpr_queue_ptr 0
		.amdhsa_user_sgpr_kernarg_segment_ptr 1
		.amdhsa_user_sgpr_dispatch_id 0
		.amdhsa_user_sgpr_kernarg_preload_length 0
		.amdhsa_user_sgpr_kernarg_preload_offset 0
		.amdhsa_user_sgpr_private_segment_size 0
		.amdhsa_uses_dynamic_stack 0
		.amdhsa_enable_private_segment 0
		.amdhsa_system_sgpr_workgroup_id_x 1
		.amdhsa_system_sgpr_workgroup_id_y 0
		.amdhsa_system_sgpr_workgroup_id_z 0
		.amdhsa_system_sgpr_workgroup_info 0
		.amdhsa_system_vgpr_workitem_id 0
		.amdhsa_next_free_vgpr 17
		.amdhsa_next_free_sgpr 21
		.amdhsa_accum_offset 20
		.amdhsa_reserve_vcc 1
		.amdhsa_float_round_mode_32 0
		.amdhsa_float_round_mode_16_64 0
		.amdhsa_float_denorm_mode_32 3
		.amdhsa_float_denorm_mode_16_64 3
		.amdhsa_dx10_clamp 1
		.amdhsa_ieee_mode 1
		.amdhsa_fp16_overflow 0
		.amdhsa_tg_split 0
		.amdhsa_exception_fp_ieee_invalid_op 0
		.amdhsa_exception_fp_denorm_src 0
		.amdhsa_exception_fp_ieee_div_zero 0
		.amdhsa_exception_fp_ieee_overflow 0
		.amdhsa_exception_fp_ieee_underflow 0
		.amdhsa_exception_fp_ieee_inexact 0
		.amdhsa_exception_int_div_zero 0
	.end_amdhsa_kernel
	.section	.text._ZN9rocsparseL17doti_kernel_part1ILj256ELj2ElDF16_DF16_fEEvT1_PKT2_PKS1_PKT3_PT4_21rocsparse_index_base_,"axG",@progbits,_ZN9rocsparseL17doti_kernel_part1ILj256ELj2ElDF16_DF16_fEEvT1_PKT2_PKS1_PKT3_PT4_21rocsparse_index_base_,comdat
.Lfunc_end16:
	.size	_ZN9rocsparseL17doti_kernel_part1ILj256ELj2ElDF16_DF16_fEEvT1_PKT2_PKS1_PKT3_PT4_21rocsparse_index_base_, .Lfunc_end16-_ZN9rocsparseL17doti_kernel_part1ILj256ELj2ElDF16_DF16_fEEvT1_PKT2_PKS1_PKT3_PT4_21rocsparse_index_base_
                                        ; -- End function
	.set _ZN9rocsparseL17doti_kernel_part1ILj256ELj2ElDF16_DF16_fEEvT1_PKT2_PKS1_PKT3_PT4_21rocsparse_index_base_.num_vgpr, 17
	.set _ZN9rocsparseL17doti_kernel_part1ILj256ELj2ElDF16_DF16_fEEvT1_PKT2_PKS1_PKT3_PT4_21rocsparse_index_base_.num_agpr, 0
	.set _ZN9rocsparseL17doti_kernel_part1ILj256ELj2ElDF16_DF16_fEEvT1_PKT2_PKS1_PKT3_PT4_21rocsparse_index_base_.numbered_sgpr, 21
	.set _ZN9rocsparseL17doti_kernel_part1ILj256ELj2ElDF16_DF16_fEEvT1_PKT2_PKS1_PKT3_PT4_21rocsparse_index_base_.num_named_barrier, 0
	.set _ZN9rocsparseL17doti_kernel_part1ILj256ELj2ElDF16_DF16_fEEvT1_PKT2_PKS1_PKT3_PT4_21rocsparse_index_base_.private_seg_size, 0
	.set _ZN9rocsparseL17doti_kernel_part1ILj256ELj2ElDF16_DF16_fEEvT1_PKT2_PKS1_PKT3_PT4_21rocsparse_index_base_.uses_vcc, 1
	.set _ZN9rocsparseL17doti_kernel_part1ILj256ELj2ElDF16_DF16_fEEvT1_PKT2_PKS1_PKT3_PT4_21rocsparse_index_base_.uses_flat_scratch, 0
	.set _ZN9rocsparseL17doti_kernel_part1ILj256ELj2ElDF16_DF16_fEEvT1_PKT2_PKS1_PKT3_PT4_21rocsparse_index_base_.has_dyn_sized_stack, 0
	.set _ZN9rocsparseL17doti_kernel_part1ILj256ELj2ElDF16_DF16_fEEvT1_PKT2_PKS1_PKT3_PT4_21rocsparse_index_base_.has_recursion, 0
	.set _ZN9rocsparseL17doti_kernel_part1ILj256ELj2ElDF16_DF16_fEEvT1_PKT2_PKS1_PKT3_PT4_21rocsparse_index_base_.has_indirect_call, 0
	.section	.AMDGPU.csdata,"",@progbits
; Kernel info:
; codeLenInByte = 948
; TotalNumSgprs: 27
; NumVgprs: 17
; NumAgprs: 0
; TotalNumVgprs: 17
; ScratchSize: 0
; MemoryBound: 0
; FloatMode: 240
; IeeeMode: 1
; LDSByteSize: 1024 bytes/workgroup (compile time only)
; SGPRBlocks: 3
; VGPRBlocks: 2
; NumSGPRsForWavesPerEU: 27
; NumVGPRsForWavesPerEU: 17
; AccumOffset: 20
; Occupancy: 8
; WaveLimiterHint : 1
; COMPUTE_PGM_RSRC2:SCRATCH_EN: 0
; COMPUTE_PGM_RSRC2:USER_SGPR: 2
; COMPUTE_PGM_RSRC2:TRAP_HANDLER: 0
; COMPUTE_PGM_RSRC2:TGID_X_EN: 1
; COMPUTE_PGM_RSRC2:TGID_Y_EN: 0
; COMPUTE_PGM_RSRC2:TGID_Z_EN: 0
; COMPUTE_PGM_RSRC2:TIDIG_COMP_CNT: 0
; COMPUTE_PGM_RSRC3_GFX90A:ACCUM_OFFSET: 4
; COMPUTE_PGM_RSRC3_GFX90A:TG_SPLIT: 0
	.section	.text._ZN9rocsparseL17doti_kernel_part1ILj256ELj2Ei18rocsparse_bfloat16S1_fEEvT1_PKT2_PKS2_PKT3_PT4_21rocsparse_index_base_,"axG",@progbits,_ZN9rocsparseL17doti_kernel_part1ILj256ELj2Ei18rocsparse_bfloat16S1_fEEvT1_PKT2_PKS2_PKT3_PT4_21rocsparse_index_base_,comdat
	.globl	_ZN9rocsparseL17doti_kernel_part1ILj256ELj2Ei18rocsparse_bfloat16S1_fEEvT1_PKT2_PKS2_PKT3_PT4_21rocsparse_index_base_ ; -- Begin function _ZN9rocsparseL17doti_kernel_part1ILj256ELj2Ei18rocsparse_bfloat16S1_fEEvT1_PKT2_PKS2_PKT3_PT4_21rocsparse_index_base_
	.p2align	8
	.type	_ZN9rocsparseL17doti_kernel_part1ILj256ELj2Ei18rocsparse_bfloat16S1_fEEvT1_PKT2_PKS2_PKT3_PT4_21rocsparse_index_base_,@function
_ZN9rocsparseL17doti_kernel_part1ILj256ELj2Ei18rocsparse_bfloat16S1_fEEvT1_PKT2_PKS2_PKT3_PT4_21rocsparse_index_base_: ; @_ZN9rocsparseL17doti_kernel_part1ILj256ELj2Ei18rocsparse_bfloat16S1_fEEvT1_PKT2_PKS2_PKT3_PT4_21rocsparse_index_base_
; %bb.0:
	s_load_dword s12, s[0:1], 0x30
	s_load_dword s3, s[0:1], 0x0
	;; [unrolled: 1-line block ×3, first 2 shown]
	s_load_dwordx8 s[4:11], s[0:1], 0x8
	v_mov_b32_e32 v1, 0
	s_waitcnt lgkmcnt(0)
	s_lshl_b32 s0, s12, 9
	s_cmp_ge_i32 s0, s3
	s_mov_b32 s13, s0
	s_cbranch_scc1 .LBB17_3
; %bb.1:
	v_lshl_or_b32 v4, s2, 9, v0
	v_mov_b32_e32 v3, 0
	s_mov_b32 s1, 0
	v_mov_b32_e32 v1, 0
.LBB17_2:                               ; =>This Inner Loop Header: Depth=1
	v_add_u32_e32 v2, s1, v4
	v_lshl_add_u64 v[6:7], v[2:3], 2, s[6:7]
	v_lshl_add_u64 v[8:9], v[2:3], 1, s[4:5]
	v_add_u32_e32 v2, 0x100, v2
	global_load_dword v5, v[6:7], off
	v_lshl_add_u64 v[6:7], v[2:3], 2, s[6:7]
	global_load_dword v10, v[6:7], off
	global_load_ushort v11, v[8:9], off
	v_lshl_add_u64 v[6:7], v[2:3], 1, s[4:5]
	global_load_ushort v2, v[6:7], off
	s_add_i32 s1, s1, s0
	s_add_i32 s13, s0, s1
	s_cmp_lt_i32 s13, s3
	s_waitcnt vmcnt(3)
	v_subrev_u32_e32 v6, s14, v5
	v_ashrrev_i32_e32 v7, 31, v6
	s_waitcnt vmcnt(2)
	v_subrev_u32_e32 v8, s14, v10
	v_lshl_add_u64 v[6:7], v[6:7], 1, s[8:9]
	v_ashrrev_i32_e32 v9, 31, v8
	global_load_ushort v5, v[6:7], off
	v_lshl_add_u64 v[6:7], v[8:9], 1, s[8:9]
	global_load_ushort v6, v[6:7], off
	s_waitcnt vmcnt(3)
	v_lshlrev_b32_e32 v7, 16, v11
	s_waitcnt vmcnt(2)
	v_lshlrev_b32_e32 v2, 16, v2
	;; [unrolled: 2-line block ×3, first 2 shown]
	v_fmac_f32_e32 v1, v5, v7
	s_waitcnt vmcnt(0)
	v_lshlrev_b32_e32 v5, 16, v6
	v_fmac_f32_e32 v1, v5, v2
	s_cbranch_scc1 .LBB17_2
.LBB17_3:
	v_lshl_or_b32 v2, s2, 8, v0
	v_subrev_u32_e32 v2, s0, v2
	v_add_u32_e32 v2, s13, v2
	v_cmp_gt_i32_e32 vcc, s3, v2
	s_and_saveexec_b64 s[0:1], vcc
	s_cbranch_execz .LBB17_7
; %bb.4:
	s_lshl_b32 s15, s12, 8
	s_mov_b64 s[12:13], 0
.LBB17_5:                               ; =>This Inner Loop Header: Depth=1
	v_ashrrev_i32_e32 v3, 31, v2
	v_lshl_add_u64 v[4:5], v[2:3], 2, s[6:7]
	global_load_dword v6, v[4:5], off
	v_lshl_add_u64 v[4:5], v[2:3], 1, s[4:5]
	global_load_ushort v3, v[4:5], off
	v_add_u32_e32 v2, s15, v2
	v_cmp_le_i32_e32 vcc, s3, v2
	s_or_b64 s[12:13], vcc, s[12:13]
	s_waitcnt vmcnt(1)
	v_subrev_u32_e32 v4, s14, v6
	v_ashrrev_i32_e32 v5, 31, v4
	v_lshl_add_u64 v[4:5], v[4:5], 1, s[8:9]
	global_load_ushort v4, v[4:5], off
	s_waitcnt vmcnt(1)
	v_lshlrev_b32_e32 v3, 16, v3
	s_waitcnt vmcnt(0)
	v_lshlrev_b32_e32 v4, 16, v4
	v_fmac_f32_e32 v1, v4, v3
	s_andn2_b64 exec, exec, s[12:13]
	s_cbranch_execnz .LBB17_5
; %bb.6:
	s_or_b64 exec, exec, s[12:13]
.LBB17_7:
	s_or_b64 exec, exec, s[0:1]
	s_movk_i32 s0, 0x80
	v_lshlrev_b32_e32 v2, 2, v0
	v_cmp_gt_u32_e32 vcc, s0, v0
	ds_write_b32 v2, v1
	s_waitcnt lgkmcnt(0)
	s_barrier
	s_and_saveexec_b64 s[0:1], vcc
	s_cbranch_execz .LBB17_9
; %bb.8:
	ds_read2st64_b32 v[4:5], v2 offset1:2
	s_waitcnt lgkmcnt(0)
	v_add_f32_e32 v1, v4, v5
	ds_write_b32 v2, v1
.LBB17_9:
	s_or_b64 exec, exec, s[0:1]
	v_cmp_gt_u32_e32 vcc, 64, v0
	s_waitcnt lgkmcnt(0)
	s_barrier
	s_and_saveexec_b64 s[0:1], vcc
	s_cbranch_execz .LBB17_11
; %bb.10:
	ds_read2st64_b32 v[4:5], v2 offset1:1
	s_waitcnt lgkmcnt(0)
	v_add_f32_e32 v1, v4, v5
	ds_write_b32 v2, v1
.LBB17_11:
	s_or_b64 exec, exec, s[0:1]
	v_cmp_gt_u32_e32 vcc, 32, v0
	s_waitcnt lgkmcnt(0)
	s_barrier
	s_and_saveexec_b64 s[0:1], vcc
	s_cbranch_execz .LBB17_13
; %bb.12:
	ds_read2_b32 v[4:5], v2 offset1:32
	s_waitcnt lgkmcnt(0)
	v_add_f32_e32 v1, v4, v5
	ds_write_b32 v2, v1
.LBB17_13:
	s_or_b64 exec, exec, s[0:1]
	v_cmp_gt_u32_e32 vcc, 16, v0
	s_waitcnt lgkmcnt(0)
	s_barrier
	s_and_saveexec_b64 s[0:1], vcc
	s_cbranch_execz .LBB17_15
; %bb.14:
	ds_read2_b32 v[4:5], v2 offset1:16
	s_waitcnt lgkmcnt(0)
	v_add_f32_e32 v1, v4, v5
	ds_write_b32 v2, v1
.LBB17_15:
	;; [unrolled: 12-line block ×5, first 2 shown]
	s_or_b64 exec, exec, s[0:1]
	v_cmp_eq_u32_e32 vcc, 0, v0
	s_waitcnt lgkmcnt(0)
	s_barrier
	s_and_saveexec_b64 s[0:1], vcc
	s_cbranch_execz .LBB17_23
; %bb.22:
	v_mov_b32_e32 v2, 0
	ds_read_b64 v[0:1], v2
	s_waitcnt lgkmcnt(0)
	v_add_f32_e32 v0, v0, v1
	ds_write_b32 v2, v0
.LBB17_23:
	s_or_b64 exec, exec, s[0:1]
	s_waitcnt lgkmcnt(0)
	s_barrier
	s_and_saveexec_b64 s[0:1], vcc
	s_cbranch_execz .LBB17_25
; %bb.24:
	v_mov_b32_e32 v0, 0
	ds_read_b32 v1, v0
	s_mov_b32 s3, 0
	s_lshl_b64 s[0:1], s[2:3], 2
	s_add_u32 s0, s10, s0
	s_addc_u32 s1, s11, s1
	s_waitcnt lgkmcnt(0)
	global_store_dword v0, v1, s[0:1]
.LBB17_25:
	s_endpgm
	.section	.rodata,"a",@progbits
	.p2align	6, 0x0
	.amdhsa_kernel _ZN9rocsparseL17doti_kernel_part1ILj256ELj2Ei18rocsparse_bfloat16S1_fEEvT1_PKT2_PKS2_PKT3_PT4_21rocsparse_index_base_
		.amdhsa_group_segment_fixed_size 1024
		.amdhsa_private_segment_fixed_size 0
		.amdhsa_kernarg_size 304
		.amdhsa_user_sgpr_count 2
		.amdhsa_user_sgpr_dispatch_ptr 0
		.amdhsa_user_sgpr_queue_ptr 0
		.amdhsa_user_sgpr_kernarg_segment_ptr 1
		.amdhsa_user_sgpr_dispatch_id 0
		.amdhsa_user_sgpr_kernarg_preload_length 0
		.amdhsa_user_sgpr_kernarg_preload_offset 0
		.amdhsa_user_sgpr_private_segment_size 0
		.amdhsa_uses_dynamic_stack 0
		.amdhsa_enable_private_segment 0
		.amdhsa_system_sgpr_workgroup_id_x 1
		.amdhsa_system_sgpr_workgroup_id_y 0
		.amdhsa_system_sgpr_workgroup_id_z 0
		.amdhsa_system_sgpr_workgroup_info 0
		.amdhsa_system_vgpr_workitem_id 0
		.amdhsa_next_free_vgpr 12
		.amdhsa_next_free_sgpr 16
		.amdhsa_accum_offset 12
		.amdhsa_reserve_vcc 1
		.amdhsa_float_round_mode_32 0
		.amdhsa_float_round_mode_16_64 0
		.amdhsa_float_denorm_mode_32 3
		.amdhsa_float_denorm_mode_16_64 3
		.amdhsa_dx10_clamp 1
		.amdhsa_ieee_mode 1
		.amdhsa_fp16_overflow 0
		.amdhsa_tg_split 0
		.amdhsa_exception_fp_ieee_invalid_op 0
		.amdhsa_exception_fp_denorm_src 0
		.amdhsa_exception_fp_ieee_div_zero 0
		.amdhsa_exception_fp_ieee_overflow 0
		.amdhsa_exception_fp_ieee_underflow 0
		.amdhsa_exception_fp_ieee_inexact 0
		.amdhsa_exception_int_div_zero 0
	.end_amdhsa_kernel
	.section	.text._ZN9rocsparseL17doti_kernel_part1ILj256ELj2Ei18rocsparse_bfloat16S1_fEEvT1_PKT2_PKS2_PKT3_PT4_21rocsparse_index_base_,"axG",@progbits,_ZN9rocsparseL17doti_kernel_part1ILj256ELj2Ei18rocsparse_bfloat16S1_fEEvT1_PKT2_PKS2_PKT3_PT4_21rocsparse_index_base_,comdat
.Lfunc_end17:
	.size	_ZN9rocsparseL17doti_kernel_part1ILj256ELj2Ei18rocsparse_bfloat16S1_fEEvT1_PKT2_PKS2_PKT3_PT4_21rocsparse_index_base_, .Lfunc_end17-_ZN9rocsparseL17doti_kernel_part1ILj256ELj2Ei18rocsparse_bfloat16S1_fEEvT1_PKT2_PKS2_PKT3_PT4_21rocsparse_index_base_
                                        ; -- End function
	.set _ZN9rocsparseL17doti_kernel_part1ILj256ELj2Ei18rocsparse_bfloat16S1_fEEvT1_PKT2_PKS2_PKT3_PT4_21rocsparse_index_base_.num_vgpr, 12
	.set _ZN9rocsparseL17doti_kernel_part1ILj256ELj2Ei18rocsparse_bfloat16S1_fEEvT1_PKT2_PKS2_PKT3_PT4_21rocsparse_index_base_.num_agpr, 0
	.set _ZN9rocsparseL17doti_kernel_part1ILj256ELj2Ei18rocsparse_bfloat16S1_fEEvT1_PKT2_PKS2_PKT3_PT4_21rocsparse_index_base_.numbered_sgpr, 16
	.set _ZN9rocsparseL17doti_kernel_part1ILj256ELj2Ei18rocsparse_bfloat16S1_fEEvT1_PKT2_PKS2_PKT3_PT4_21rocsparse_index_base_.num_named_barrier, 0
	.set _ZN9rocsparseL17doti_kernel_part1ILj256ELj2Ei18rocsparse_bfloat16S1_fEEvT1_PKT2_PKS2_PKT3_PT4_21rocsparse_index_base_.private_seg_size, 0
	.set _ZN9rocsparseL17doti_kernel_part1ILj256ELj2Ei18rocsparse_bfloat16S1_fEEvT1_PKT2_PKS2_PKT3_PT4_21rocsparse_index_base_.uses_vcc, 1
	.set _ZN9rocsparseL17doti_kernel_part1ILj256ELj2Ei18rocsparse_bfloat16S1_fEEvT1_PKT2_PKS2_PKT3_PT4_21rocsparse_index_base_.uses_flat_scratch, 0
	.set _ZN9rocsparseL17doti_kernel_part1ILj256ELj2Ei18rocsparse_bfloat16S1_fEEvT1_PKT2_PKS2_PKT3_PT4_21rocsparse_index_base_.has_dyn_sized_stack, 0
	.set _ZN9rocsparseL17doti_kernel_part1ILj256ELj2Ei18rocsparse_bfloat16S1_fEEvT1_PKT2_PKS2_PKT3_PT4_21rocsparse_index_base_.has_recursion, 0
	.set _ZN9rocsparseL17doti_kernel_part1ILj256ELj2Ei18rocsparse_bfloat16S1_fEEvT1_PKT2_PKS2_PKT3_PT4_21rocsparse_index_base_.has_indirect_call, 0
	.section	.AMDGPU.csdata,"",@progbits
; Kernel info:
; codeLenInByte = 876
; TotalNumSgprs: 22
; NumVgprs: 12
; NumAgprs: 0
; TotalNumVgprs: 12
; ScratchSize: 0
; MemoryBound: 0
; FloatMode: 240
; IeeeMode: 1
; LDSByteSize: 1024 bytes/workgroup (compile time only)
; SGPRBlocks: 2
; VGPRBlocks: 1
; NumSGPRsForWavesPerEU: 22
; NumVGPRsForWavesPerEU: 12
; AccumOffset: 12
; Occupancy: 8
; WaveLimiterHint : 1
; COMPUTE_PGM_RSRC2:SCRATCH_EN: 0
; COMPUTE_PGM_RSRC2:USER_SGPR: 2
; COMPUTE_PGM_RSRC2:TRAP_HANDLER: 0
; COMPUTE_PGM_RSRC2:TGID_X_EN: 1
; COMPUTE_PGM_RSRC2:TGID_Y_EN: 0
; COMPUTE_PGM_RSRC2:TGID_Z_EN: 0
; COMPUTE_PGM_RSRC2:TIDIG_COMP_CNT: 0
; COMPUTE_PGM_RSRC3_GFX90A:ACCUM_OFFSET: 2
; COMPUTE_PGM_RSRC3_GFX90A:TG_SPLIT: 0
	.section	.text._ZN9rocsparseL17doti_kernel_part1ILj256ELj2El18rocsparse_bfloat16S1_fEEvT1_PKT2_PKS2_PKT3_PT4_21rocsparse_index_base_,"axG",@progbits,_ZN9rocsparseL17doti_kernel_part1ILj256ELj2El18rocsparse_bfloat16S1_fEEvT1_PKT2_PKS2_PKT3_PT4_21rocsparse_index_base_,comdat
	.globl	_ZN9rocsparseL17doti_kernel_part1ILj256ELj2El18rocsparse_bfloat16S1_fEEvT1_PKT2_PKS2_PKT3_PT4_21rocsparse_index_base_ ; -- Begin function _ZN9rocsparseL17doti_kernel_part1ILj256ELj2El18rocsparse_bfloat16S1_fEEvT1_PKT2_PKS2_PKT3_PT4_21rocsparse_index_base_
	.p2align	8
	.type	_ZN9rocsparseL17doti_kernel_part1ILj256ELj2El18rocsparse_bfloat16S1_fEEvT1_PKT2_PKS2_PKT3_PT4_21rocsparse_index_base_,@function
_ZN9rocsparseL17doti_kernel_part1ILj256ELj2El18rocsparse_bfloat16S1_fEEvT1_PKT2_PKS2_PKT3_PT4_21rocsparse_index_base_: ; @_ZN9rocsparseL17doti_kernel_part1ILj256ELj2El18rocsparse_bfloat16S1_fEEvT1_PKT2_PKS2_PKT3_PT4_21rocsparse_index_base_
; %bb.0:
	s_load_dwordx8 s[4:11], s[0:1], 0x0
	s_load_dwordx2 s[12:13], s[0:1], 0x20
	s_load_dword s3, s[0:1], 0x28
	s_load_dword s20, s[0:1], 0x30
	s_mov_b32 s1, 0
	s_lshl_b32 s14, s2, 8
	v_or_b32_e32 v1, s14, v0
	v_mov_b32_e32 v3, 0
	s_waitcnt lgkmcnt(0)
	s_lshl_b32 s0, s20, 9
	v_mov_b64_e32 v[4:5], s[0:1]
	v_cmp_le_i64_e32 vcc, s[4:5], v[4:5]
	s_cbranch_vccnz .LBB18_3
; %bb.1:
	v_add_u32_e32 v2, s14, v1
	v_mov_b32_e32 v3, 0
	v_lshl_add_u64 v[4:5], v[2:3], 1, s[6:7]
	s_mov_b64 s[14:15], 0x200
	v_lshl_add_u64 v[4:5], v[4:5], 0, s[14:15]
	v_lshl_add_u64 v[6:7], v[2:3], 3, s[8:9]
	s_mov_b64 s[14:15], 0x800
	s_lshl_b64 s[16:17], s[0:1], 1
	v_lshl_add_u64 v[6:7], v[6:7], 0, s[14:15]
	s_lshl_b64 s[18:19], s[0:1], 3
	v_mov_b64_e32 v[8:9], s[4:5]
	s_mov_b64 s[14:15], s[0:1]
.LBB18_2:                               ; =>This Inner Loop Header: Depth=1
	global_load_dwordx2 v[10:11], v[6:7], off offset:-2048
	global_load_dwordx2 v[12:13], v[6:7], off
	global_load_ushort v2, v[4:5], off offset:-512
	global_load_ushort v14, v[4:5], off
	s_add_u32 s14, s14, s0
	s_addc_u32 s15, s15, 0
	v_lshl_add_u64 v[4:5], v[4:5], 0, s[16:17]
	v_lshl_add_u64 v[6:7], v[6:7], 0, s[18:19]
	s_waitcnt vmcnt(3)
	v_subrev_co_u32_e32 v10, vcc, s3, v10
	s_nop 1
	v_subbrev_co_u32_e32 v11, vcc, 0, v11, vcc
	s_waitcnt vmcnt(2)
	v_subrev_co_u32_e32 v12, vcc, s3, v12
	v_lshl_add_u64 v[10:11], v[10:11], 1, s[10:11]
	s_nop 0
	v_subbrev_co_u32_e32 v13, vcc, 0, v13, vcc
	v_lshl_add_u64 v[12:13], v[12:13], 1, s[10:11]
	global_load_ushort v15, v[10:11], off
	global_load_ushort v16, v[12:13], off
	s_waitcnt vmcnt(3)
	v_lshlrev_b32_e32 v2, 16, v2
	v_cmp_lt_i64_e32 vcc, s[14:15], v[8:9]
	s_waitcnt vmcnt(2)
	v_lshlrev_b32_e32 v10, 16, v14
	s_and_b64 vcc, exec, vcc
	s_waitcnt vmcnt(1)
	v_lshlrev_b32_e32 v11, 16, v15
	s_waitcnt vmcnt(0)
	v_lshlrev_b32_e32 v12, 16, v16
	v_fmac_f32_e32 v3, v11, v2
	v_fmac_f32_e32 v3, v12, v10
	s_cbranch_vccnz .LBB18_2
	s_branch .LBB18_4
.LBB18_3:
	s_mov_b64 s[14:15], s[0:1]
.LBB18_4:
	v_subrev_co_u32_e32 v4, vcc, s0, v1
	s_nop 1
	v_subb_co_u32_e64 v5, s[0:1], 0, 0, vcc
	v_lshl_add_u64 v[4:5], v[4:5], 0, s[14:15]
	v_cmp_gt_i64_e32 vcc, s[4:5], v[4:5]
	s_and_saveexec_b64 s[0:1], vcc
	s_cbranch_execz .LBB18_8
; %bb.5:
	s_mov_b32 s15, 0
	s_lshl_b32 s14, s20, 8
	v_lshl_add_u64 v[6:7], v[4:5], 1, s[6:7]
	s_lshl_b64 s[6:7], s[14:15], 1
	v_lshl_add_u64 v[8:9], v[4:5], 3, s[8:9]
	s_lshl_b64 s[16:17], s[14:15], 3
	s_mov_b64 s[8:9], 0
.LBB18_6:                               ; =>This Inner Loop Header: Depth=1
	global_load_dwordx2 v[10:11], v[8:9], off
	global_load_ushort v1, v[6:7], off
	v_lshl_add_u64 v[4:5], v[4:5], 0, s[14:15]
	v_lshl_add_u64 v[6:7], v[6:7], 0, s[6:7]
	;; [unrolled: 1-line block ×3, first 2 shown]
	s_waitcnt vmcnt(1)
	v_subrev_co_u32_e32 v10, vcc, s3, v10
	s_nop 1
	v_subbrev_co_u32_e32 v11, vcc, 0, v11, vcc
	v_lshl_add_u64 v[10:11], v[10:11], 1, s[10:11]
	global_load_ushort v2, v[10:11], off
	v_cmp_le_i64_e32 vcc, s[4:5], v[4:5]
	s_waitcnt vmcnt(1)
	v_lshlrev_b32_e32 v1, 16, v1
	s_or_b64 s[8:9], vcc, s[8:9]
	s_waitcnt vmcnt(0)
	v_lshlrev_b32_e32 v2, 16, v2
	v_fmac_f32_e32 v3, v2, v1
	s_andn2_b64 exec, exec, s[8:9]
	s_cbranch_execnz .LBB18_6
; %bb.7:
	s_or_b64 exec, exec, s[8:9]
.LBB18_8:
	s_or_b64 exec, exec, s[0:1]
	s_movk_i32 s0, 0x80
	v_lshlrev_b32_e32 v1, 2, v0
	v_cmp_gt_u32_e32 vcc, s0, v0
	ds_write_b32 v1, v3
	s_waitcnt lgkmcnt(0)
	s_barrier
	s_and_saveexec_b64 s[0:1], vcc
	s_cbranch_execz .LBB18_10
; %bb.9:
	ds_read2st64_b32 v[2:3], v1 offset1:2
	s_waitcnt lgkmcnt(0)
	v_add_f32_e32 v2, v2, v3
	ds_write_b32 v1, v2
.LBB18_10:
	s_or_b64 exec, exec, s[0:1]
	v_cmp_gt_u32_e32 vcc, 64, v0
	s_waitcnt lgkmcnt(0)
	s_barrier
	s_and_saveexec_b64 s[0:1], vcc
	s_cbranch_execz .LBB18_12
; %bb.11:
	ds_read2st64_b32 v[2:3], v1 offset1:1
	s_waitcnt lgkmcnt(0)
	v_add_f32_e32 v2, v2, v3
	ds_write_b32 v1, v2
.LBB18_12:
	s_or_b64 exec, exec, s[0:1]
	v_cmp_gt_u32_e32 vcc, 32, v0
	s_waitcnt lgkmcnt(0)
	s_barrier
	s_and_saveexec_b64 s[0:1], vcc
	s_cbranch_execz .LBB18_14
; %bb.13:
	ds_read2_b32 v[2:3], v1 offset1:32
	s_waitcnt lgkmcnt(0)
	v_add_f32_e32 v2, v2, v3
	ds_write_b32 v1, v2
.LBB18_14:
	s_or_b64 exec, exec, s[0:1]
	v_cmp_gt_u32_e32 vcc, 16, v0
	s_waitcnt lgkmcnt(0)
	s_barrier
	s_and_saveexec_b64 s[0:1], vcc
	s_cbranch_execz .LBB18_16
; %bb.15:
	ds_read2_b32 v[2:3], v1 offset1:16
	s_waitcnt lgkmcnt(0)
	v_add_f32_e32 v2, v2, v3
	ds_write_b32 v1, v2
.LBB18_16:
	;; [unrolled: 12-line block ×5, first 2 shown]
	s_or_b64 exec, exec, s[0:1]
	v_cmp_eq_u32_e32 vcc, 0, v0
	s_waitcnt lgkmcnt(0)
	s_barrier
	s_and_saveexec_b64 s[0:1], vcc
	s_cbranch_execz .LBB18_24
; %bb.23:
	v_mov_b32_e32 v2, 0
	ds_read_b64 v[0:1], v2
	s_waitcnt lgkmcnt(0)
	v_add_f32_e32 v0, v0, v1
	ds_write_b32 v2, v0
.LBB18_24:
	s_or_b64 exec, exec, s[0:1]
	s_waitcnt lgkmcnt(0)
	s_barrier
	s_and_saveexec_b64 s[0:1], vcc
	s_cbranch_execz .LBB18_26
; %bb.25:
	v_mov_b32_e32 v0, 0
	ds_read_b32 v1, v0
	s_mov_b32 s3, 0
	s_lshl_b64 s[0:1], s[2:3], 2
	s_add_u32 s0, s12, s0
	s_addc_u32 s1, s13, s1
	s_waitcnt lgkmcnt(0)
	global_store_dword v0, v1, s[0:1]
.LBB18_26:
	s_endpgm
	.section	.rodata,"a",@progbits
	.p2align	6, 0x0
	.amdhsa_kernel _ZN9rocsparseL17doti_kernel_part1ILj256ELj2El18rocsparse_bfloat16S1_fEEvT1_PKT2_PKS2_PKT3_PT4_21rocsparse_index_base_
		.amdhsa_group_segment_fixed_size 1024
		.amdhsa_private_segment_fixed_size 0
		.amdhsa_kernarg_size 304
		.amdhsa_user_sgpr_count 2
		.amdhsa_user_sgpr_dispatch_ptr 0
		.amdhsa_user_sgpr_queue_ptr 0
		.amdhsa_user_sgpr_kernarg_segment_ptr 1
		.amdhsa_user_sgpr_dispatch_id 0
		.amdhsa_user_sgpr_kernarg_preload_length 0
		.amdhsa_user_sgpr_kernarg_preload_offset 0
		.amdhsa_user_sgpr_private_segment_size 0
		.amdhsa_uses_dynamic_stack 0
		.amdhsa_enable_private_segment 0
		.amdhsa_system_sgpr_workgroup_id_x 1
		.amdhsa_system_sgpr_workgroup_id_y 0
		.amdhsa_system_sgpr_workgroup_id_z 0
		.amdhsa_system_sgpr_workgroup_info 0
		.amdhsa_system_vgpr_workitem_id 0
		.amdhsa_next_free_vgpr 17
		.amdhsa_next_free_sgpr 21
		.amdhsa_accum_offset 20
		.amdhsa_reserve_vcc 1
		.amdhsa_float_round_mode_32 0
		.amdhsa_float_round_mode_16_64 0
		.amdhsa_float_denorm_mode_32 3
		.amdhsa_float_denorm_mode_16_64 3
		.amdhsa_dx10_clamp 1
		.amdhsa_ieee_mode 1
		.amdhsa_fp16_overflow 0
		.amdhsa_tg_split 0
		.amdhsa_exception_fp_ieee_invalid_op 0
		.amdhsa_exception_fp_denorm_src 0
		.amdhsa_exception_fp_ieee_div_zero 0
		.amdhsa_exception_fp_ieee_overflow 0
		.amdhsa_exception_fp_ieee_underflow 0
		.amdhsa_exception_fp_ieee_inexact 0
		.amdhsa_exception_int_div_zero 0
	.end_amdhsa_kernel
	.section	.text._ZN9rocsparseL17doti_kernel_part1ILj256ELj2El18rocsparse_bfloat16S1_fEEvT1_PKT2_PKS2_PKT3_PT4_21rocsparse_index_base_,"axG",@progbits,_ZN9rocsparseL17doti_kernel_part1ILj256ELj2El18rocsparse_bfloat16S1_fEEvT1_PKT2_PKS2_PKT3_PT4_21rocsparse_index_base_,comdat
.Lfunc_end18:
	.size	_ZN9rocsparseL17doti_kernel_part1ILj256ELj2El18rocsparse_bfloat16S1_fEEvT1_PKT2_PKS2_PKT3_PT4_21rocsparse_index_base_, .Lfunc_end18-_ZN9rocsparseL17doti_kernel_part1ILj256ELj2El18rocsparse_bfloat16S1_fEEvT1_PKT2_PKS2_PKT3_PT4_21rocsparse_index_base_
                                        ; -- End function
	.set _ZN9rocsparseL17doti_kernel_part1ILj256ELj2El18rocsparse_bfloat16S1_fEEvT1_PKT2_PKS2_PKT3_PT4_21rocsparse_index_base_.num_vgpr, 17
	.set _ZN9rocsparseL17doti_kernel_part1ILj256ELj2El18rocsparse_bfloat16S1_fEEvT1_PKT2_PKS2_PKT3_PT4_21rocsparse_index_base_.num_agpr, 0
	.set _ZN9rocsparseL17doti_kernel_part1ILj256ELj2El18rocsparse_bfloat16S1_fEEvT1_PKT2_PKS2_PKT3_PT4_21rocsparse_index_base_.numbered_sgpr, 21
	.set _ZN9rocsparseL17doti_kernel_part1ILj256ELj2El18rocsparse_bfloat16S1_fEEvT1_PKT2_PKS2_PKT3_PT4_21rocsparse_index_base_.num_named_barrier, 0
	.set _ZN9rocsparseL17doti_kernel_part1ILj256ELj2El18rocsparse_bfloat16S1_fEEvT1_PKT2_PKS2_PKT3_PT4_21rocsparse_index_base_.private_seg_size, 0
	.set _ZN9rocsparseL17doti_kernel_part1ILj256ELj2El18rocsparse_bfloat16S1_fEEvT1_PKT2_PKS2_PKT3_PT4_21rocsparse_index_base_.uses_vcc, 1
	.set _ZN9rocsparseL17doti_kernel_part1ILj256ELj2El18rocsparse_bfloat16S1_fEEvT1_PKT2_PKS2_PKT3_PT4_21rocsparse_index_base_.uses_flat_scratch, 0
	.set _ZN9rocsparseL17doti_kernel_part1ILj256ELj2El18rocsparse_bfloat16S1_fEEvT1_PKT2_PKS2_PKT3_PT4_21rocsparse_index_base_.has_dyn_sized_stack, 0
	.set _ZN9rocsparseL17doti_kernel_part1ILj256ELj2El18rocsparse_bfloat16S1_fEEvT1_PKT2_PKS2_PKT3_PT4_21rocsparse_index_base_.has_recursion, 0
	.set _ZN9rocsparseL17doti_kernel_part1ILj256ELj2El18rocsparse_bfloat16S1_fEEvT1_PKT2_PKS2_PKT3_PT4_21rocsparse_index_base_.has_indirect_call, 0
	.section	.AMDGPU.csdata,"",@progbits
; Kernel info:
; codeLenInByte = 972
; TotalNumSgprs: 27
; NumVgprs: 17
; NumAgprs: 0
; TotalNumVgprs: 17
; ScratchSize: 0
; MemoryBound: 0
; FloatMode: 240
; IeeeMode: 1
; LDSByteSize: 1024 bytes/workgroup (compile time only)
; SGPRBlocks: 3
; VGPRBlocks: 2
; NumSGPRsForWavesPerEU: 27
; NumVGPRsForWavesPerEU: 17
; AccumOffset: 20
; Occupancy: 8
; WaveLimiterHint : 1
; COMPUTE_PGM_RSRC2:SCRATCH_EN: 0
; COMPUTE_PGM_RSRC2:USER_SGPR: 2
; COMPUTE_PGM_RSRC2:TRAP_HANDLER: 0
; COMPUTE_PGM_RSRC2:TGID_X_EN: 1
; COMPUTE_PGM_RSRC2:TGID_Y_EN: 0
; COMPUTE_PGM_RSRC2:TGID_Z_EN: 0
; COMPUTE_PGM_RSRC2:TIDIG_COMP_CNT: 0
; COMPUTE_PGM_RSRC3_GFX90A:ACCUM_OFFSET: 4
; COMPUTE_PGM_RSRC3_GFX90A:TG_SPLIT: 0
	.section	.text._ZN9rocsparseL17doti_kernel_part1ILj256ELj2EiaafEEvT1_PKT2_PKS1_PKT3_PT4_21rocsparse_index_base_,"axG",@progbits,_ZN9rocsparseL17doti_kernel_part1ILj256ELj2EiaafEEvT1_PKT2_PKS1_PKT3_PT4_21rocsparse_index_base_,comdat
	.globl	_ZN9rocsparseL17doti_kernel_part1ILj256ELj2EiaafEEvT1_PKT2_PKS1_PKT3_PT4_21rocsparse_index_base_ ; -- Begin function _ZN9rocsparseL17doti_kernel_part1ILj256ELj2EiaafEEvT1_PKT2_PKS1_PKT3_PT4_21rocsparse_index_base_
	.p2align	8
	.type	_ZN9rocsparseL17doti_kernel_part1ILj256ELj2EiaafEEvT1_PKT2_PKS1_PKT3_PT4_21rocsparse_index_base_,@function
_ZN9rocsparseL17doti_kernel_part1ILj256ELj2EiaafEEvT1_PKT2_PKS1_PKT3_PT4_21rocsparse_index_base_: ; @_ZN9rocsparseL17doti_kernel_part1ILj256ELj2EiaafEEvT1_PKT2_PKS1_PKT3_PT4_21rocsparse_index_base_
; %bb.0:
	s_load_dword s12, s[0:1], 0x30
	s_load_dword s3, s[0:1], 0x0
	;; [unrolled: 1-line block ×3, first 2 shown]
	s_load_dwordx8 s[4:11], s[0:1], 0x8
	v_mov_b32_e32 v1, 0
	s_waitcnt lgkmcnt(0)
	s_lshl_b32 s0, s12, 9
	s_cmp_ge_i32 s0, s3
	s_mov_b32 s13, s0
	s_cbranch_scc1 .LBB19_3
; %bb.1:
	v_lshl_or_b32 v4, s2, 9, v0
	v_mov_b32_e32 v3, 0
	s_mov_b32 s1, 0
	v_mov_b32_e32 v1, 0
.LBB19_2:                               ; =>This Inner Loop Header: Depth=1
	v_add_u32_e32 v2, s1, v4
	v_lshl_add_u64 v[6:7], v[2:3], 2, s[6:7]
	global_load_sbyte v5, v2, s[4:5]
	v_add_u32_e32 v2, 0x100, v2
	global_load_dword v8, v[6:7], off
	v_lshl_add_u64 v[6:7], v[2:3], 2, s[6:7]
	global_load_dword v9, v[6:7], off
	global_load_sbyte v10, v2, s[4:5]
	s_add_i32 s1, s1, s0
	s_add_i32 s13, s0, s1
	s_cmp_lt_i32 s13, s3
	s_waitcnt vmcnt(3)
	v_cvt_f32_i32_e32 v5, v5
	s_waitcnt vmcnt(2)
	v_subrev_u32_e32 v6, s14, v8
	v_ashrrev_i32_e32 v7, 31, v6
	s_waitcnt vmcnt(1)
	v_subrev_u32_e32 v8, s14, v9
	v_lshl_add_u64 v[6:7], s[8:9], 0, v[6:7]
	v_ashrrev_i32_e32 v9, 31, v8
	v_lshl_add_u64 v[8:9], s[8:9], 0, v[8:9]
	global_load_sbyte v2, v[6:7], off
	global_load_sbyte v11, v[8:9], off
	s_waitcnt vmcnt(2)
	v_cvt_f32_i32_e32 v6, v10
	s_waitcnt vmcnt(1)
	v_cvt_f32_i32_e32 v2, v2
	s_waitcnt vmcnt(0)
	v_cvt_f32_i32_e32 v7, v11
	v_fmac_f32_e32 v1, v2, v5
	v_fmac_f32_e32 v1, v7, v6
	s_cbranch_scc1 .LBB19_2
.LBB19_3:
	v_lshl_or_b32 v2, s2, 8, v0
	v_subrev_u32_e32 v2, s0, v2
	v_add_u32_e32 v2, s13, v2
	v_cmp_gt_i32_e32 vcc, s3, v2
	s_and_saveexec_b64 s[0:1], vcc
	s_cbranch_execz .LBB19_7
; %bb.4:
	s_lshl_b32 s15, s12, 8
	s_mov_b64 s[12:13], 0
.LBB19_5:                               ; =>This Inner Loop Header: Depth=1
	v_ashrrev_i32_e32 v3, 31, v2
	v_lshl_add_u64 v[4:5], v[2:3], 2, s[6:7]
	global_load_dword v6, v[4:5], off
	v_lshl_add_u64 v[4:5], s[4:5], 0, v[2:3]
	v_add_u32_e32 v2, s15, v2
	v_cmp_le_i32_e32 vcc, s3, v2
	s_or_b64 s[12:13], vcc, s[12:13]
	s_waitcnt vmcnt(0)
	v_subrev_u32_e32 v6, s14, v6
	v_ashrrev_i32_e32 v7, 31, v6
	v_lshl_add_u64 v[6:7], s[8:9], 0, v[6:7]
	global_load_sbyte v3, v[6:7], off
	global_load_sbyte v8, v[4:5], off
	s_waitcnt vmcnt(1)
	v_cvt_f32_i32_e32 v3, v3
	s_waitcnt vmcnt(0)
	v_cvt_f32_i32_e32 v4, v8
	v_fmac_f32_e32 v1, v3, v4
	s_andn2_b64 exec, exec, s[12:13]
	s_cbranch_execnz .LBB19_5
; %bb.6:
	s_or_b64 exec, exec, s[12:13]
.LBB19_7:
	s_or_b64 exec, exec, s[0:1]
	s_movk_i32 s0, 0x80
	v_lshlrev_b32_e32 v2, 2, v0
	v_cmp_gt_u32_e32 vcc, s0, v0
	ds_write_b32 v2, v1
	s_waitcnt lgkmcnt(0)
	s_barrier
	s_and_saveexec_b64 s[0:1], vcc
	s_cbranch_execz .LBB19_9
; %bb.8:
	ds_read2st64_b32 v[4:5], v2 offset1:2
	s_waitcnt lgkmcnt(0)
	v_add_f32_e32 v1, v4, v5
	ds_write_b32 v2, v1
.LBB19_9:
	s_or_b64 exec, exec, s[0:1]
	v_cmp_gt_u32_e32 vcc, 64, v0
	s_waitcnt lgkmcnt(0)
	s_barrier
	s_and_saveexec_b64 s[0:1], vcc
	s_cbranch_execz .LBB19_11
; %bb.10:
	ds_read2st64_b32 v[4:5], v2 offset1:1
	s_waitcnt lgkmcnt(0)
	v_add_f32_e32 v1, v4, v5
	ds_write_b32 v2, v1
.LBB19_11:
	s_or_b64 exec, exec, s[0:1]
	v_cmp_gt_u32_e32 vcc, 32, v0
	s_waitcnt lgkmcnt(0)
	s_barrier
	s_and_saveexec_b64 s[0:1], vcc
	s_cbranch_execz .LBB19_13
; %bb.12:
	ds_read2_b32 v[4:5], v2 offset1:32
	s_waitcnt lgkmcnt(0)
	v_add_f32_e32 v1, v4, v5
	ds_write_b32 v2, v1
.LBB19_13:
	s_or_b64 exec, exec, s[0:1]
	v_cmp_gt_u32_e32 vcc, 16, v0
	s_waitcnt lgkmcnt(0)
	s_barrier
	s_and_saveexec_b64 s[0:1], vcc
	s_cbranch_execz .LBB19_15
; %bb.14:
	ds_read2_b32 v[4:5], v2 offset1:16
	s_waitcnt lgkmcnt(0)
	v_add_f32_e32 v1, v4, v5
	ds_write_b32 v2, v1
.LBB19_15:
	;; [unrolled: 12-line block ×5, first 2 shown]
	s_or_b64 exec, exec, s[0:1]
	v_cmp_eq_u32_e32 vcc, 0, v0
	s_waitcnt lgkmcnt(0)
	s_barrier
	s_and_saveexec_b64 s[0:1], vcc
	s_cbranch_execz .LBB19_23
; %bb.22:
	v_mov_b32_e32 v2, 0
	ds_read_b64 v[0:1], v2
	s_waitcnt lgkmcnt(0)
	v_add_f32_e32 v0, v0, v1
	ds_write_b32 v2, v0
.LBB19_23:
	s_or_b64 exec, exec, s[0:1]
	s_waitcnt lgkmcnt(0)
	s_barrier
	s_and_saveexec_b64 s[0:1], vcc
	s_cbranch_execz .LBB19_25
; %bb.24:
	v_mov_b32_e32 v0, 0
	ds_read_b32 v1, v0
	s_mov_b32 s3, 0
	s_lshl_b64 s[0:1], s[2:3], 2
	s_add_u32 s0, s10, s0
	s_addc_u32 s1, s11, s1
	s_waitcnt lgkmcnt(0)
	global_store_dword v0, v1, s[0:1]
.LBB19_25:
	s_endpgm
	.section	.rodata,"a",@progbits
	.p2align	6, 0x0
	.amdhsa_kernel _ZN9rocsparseL17doti_kernel_part1ILj256ELj2EiaafEEvT1_PKT2_PKS1_PKT3_PT4_21rocsparse_index_base_
		.amdhsa_group_segment_fixed_size 1024
		.amdhsa_private_segment_fixed_size 0
		.amdhsa_kernarg_size 304
		.amdhsa_user_sgpr_count 2
		.amdhsa_user_sgpr_dispatch_ptr 0
		.amdhsa_user_sgpr_queue_ptr 0
		.amdhsa_user_sgpr_kernarg_segment_ptr 1
		.amdhsa_user_sgpr_dispatch_id 0
		.amdhsa_user_sgpr_kernarg_preload_length 0
		.amdhsa_user_sgpr_kernarg_preload_offset 0
		.amdhsa_user_sgpr_private_segment_size 0
		.amdhsa_uses_dynamic_stack 0
		.amdhsa_enable_private_segment 0
		.amdhsa_system_sgpr_workgroup_id_x 1
		.amdhsa_system_sgpr_workgroup_id_y 0
		.amdhsa_system_sgpr_workgroup_id_z 0
		.amdhsa_system_sgpr_workgroup_info 0
		.amdhsa_system_vgpr_workitem_id 0
		.amdhsa_next_free_vgpr 12
		.amdhsa_next_free_sgpr 16
		.amdhsa_accum_offset 12
		.amdhsa_reserve_vcc 1
		.amdhsa_float_round_mode_32 0
		.amdhsa_float_round_mode_16_64 0
		.amdhsa_float_denorm_mode_32 3
		.amdhsa_float_denorm_mode_16_64 3
		.amdhsa_dx10_clamp 1
		.amdhsa_ieee_mode 1
		.amdhsa_fp16_overflow 0
		.amdhsa_tg_split 0
		.amdhsa_exception_fp_ieee_invalid_op 0
		.amdhsa_exception_fp_denorm_src 0
		.amdhsa_exception_fp_ieee_div_zero 0
		.amdhsa_exception_fp_ieee_overflow 0
		.amdhsa_exception_fp_ieee_underflow 0
		.amdhsa_exception_fp_ieee_inexact 0
		.amdhsa_exception_int_div_zero 0
	.end_amdhsa_kernel
	.section	.text._ZN9rocsparseL17doti_kernel_part1ILj256ELj2EiaafEEvT1_PKT2_PKS1_PKT3_PT4_21rocsparse_index_base_,"axG",@progbits,_ZN9rocsparseL17doti_kernel_part1ILj256ELj2EiaafEEvT1_PKT2_PKS1_PKT3_PT4_21rocsparse_index_base_,comdat
.Lfunc_end19:
	.size	_ZN9rocsparseL17doti_kernel_part1ILj256ELj2EiaafEEvT1_PKT2_PKS1_PKT3_PT4_21rocsparse_index_base_, .Lfunc_end19-_ZN9rocsparseL17doti_kernel_part1ILj256ELj2EiaafEEvT1_PKT2_PKS1_PKT3_PT4_21rocsparse_index_base_
                                        ; -- End function
	.set _ZN9rocsparseL17doti_kernel_part1ILj256ELj2EiaafEEvT1_PKT2_PKS1_PKT3_PT4_21rocsparse_index_base_.num_vgpr, 12
	.set _ZN9rocsparseL17doti_kernel_part1ILj256ELj2EiaafEEvT1_PKT2_PKS1_PKT3_PT4_21rocsparse_index_base_.num_agpr, 0
	.set _ZN9rocsparseL17doti_kernel_part1ILj256ELj2EiaafEEvT1_PKT2_PKS1_PKT3_PT4_21rocsparse_index_base_.numbered_sgpr, 16
	.set _ZN9rocsparseL17doti_kernel_part1ILj256ELj2EiaafEEvT1_PKT2_PKS1_PKT3_PT4_21rocsparse_index_base_.num_named_barrier, 0
	.set _ZN9rocsparseL17doti_kernel_part1ILj256ELj2EiaafEEvT1_PKT2_PKS1_PKT3_PT4_21rocsparse_index_base_.private_seg_size, 0
	.set _ZN9rocsparseL17doti_kernel_part1ILj256ELj2EiaafEEvT1_PKT2_PKS1_PKT3_PT4_21rocsparse_index_base_.uses_vcc, 1
	.set _ZN9rocsparseL17doti_kernel_part1ILj256ELj2EiaafEEvT1_PKT2_PKS1_PKT3_PT4_21rocsparse_index_base_.uses_flat_scratch, 0
	.set _ZN9rocsparseL17doti_kernel_part1ILj256ELj2EiaafEEvT1_PKT2_PKS1_PKT3_PT4_21rocsparse_index_base_.has_dyn_sized_stack, 0
	.set _ZN9rocsparseL17doti_kernel_part1ILj256ELj2EiaafEEvT1_PKT2_PKS1_PKT3_PT4_21rocsparse_index_base_.has_recursion, 0
	.set _ZN9rocsparseL17doti_kernel_part1ILj256ELj2EiaafEEvT1_PKT2_PKS1_PKT3_PT4_21rocsparse_index_base_.has_indirect_call, 0
	.section	.AMDGPU.csdata,"",@progbits
; Kernel info:
; codeLenInByte = 860
; TotalNumSgprs: 22
; NumVgprs: 12
; NumAgprs: 0
; TotalNumVgprs: 12
; ScratchSize: 0
; MemoryBound: 0
; FloatMode: 240
; IeeeMode: 1
; LDSByteSize: 1024 bytes/workgroup (compile time only)
; SGPRBlocks: 2
; VGPRBlocks: 1
; NumSGPRsForWavesPerEU: 22
; NumVGPRsForWavesPerEU: 12
; AccumOffset: 12
; Occupancy: 8
; WaveLimiterHint : 1
; COMPUTE_PGM_RSRC2:SCRATCH_EN: 0
; COMPUTE_PGM_RSRC2:USER_SGPR: 2
; COMPUTE_PGM_RSRC2:TRAP_HANDLER: 0
; COMPUTE_PGM_RSRC2:TGID_X_EN: 1
; COMPUTE_PGM_RSRC2:TGID_Y_EN: 0
; COMPUTE_PGM_RSRC2:TGID_Z_EN: 0
; COMPUTE_PGM_RSRC2:TIDIG_COMP_CNT: 0
; COMPUTE_PGM_RSRC3_GFX90A:ACCUM_OFFSET: 2
; COMPUTE_PGM_RSRC3_GFX90A:TG_SPLIT: 0
	.section	.text._ZN9rocsparseL17doti_kernel_part1ILj256ELj2ElaafEEvT1_PKT2_PKS1_PKT3_PT4_21rocsparse_index_base_,"axG",@progbits,_ZN9rocsparseL17doti_kernel_part1ILj256ELj2ElaafEEvT1_PKT2_PKS1_PKT3_PT4_21rocsparse_index_base_,comdat
	.globl	_ZN9rocsparseL17doti_kernel_part1ILj256ELj2ElaafEEvT1_PKT2_PKS1_PKT3_PT4_21rocsparse_index_base_ ; -- Begin function _ZN9rocsparseL17doti_kernel_part1ILj256ELj2ElaafEEvT1_PKT2_PKS1_PKT3_PT4_21rocsparse_index_base_
	.p2align	8
	.type	_ZN9rocsparseL17doti_kernel_part1ILj256ELj2ElaafEEvT1_PKT2_PKS1_PKT3_PT4_21rocsparse_index_base_,@function
_ZN9rocsparseL17doti_kernel_part1ILj256ELj2ElaafEEvT1_PKT2_PKS1_PKT3_PT4_21rocsparse_index_base_: ; @_ZN9rocsparseL17doti_kernel_part1ILj256ELj2ElaafEEvT1_PKT2_PKS1_PKT3_PT4_21rocsparse_index_base_
; %bb.0:
	s_load_dwordx8 s[4:11], s[0:1], 0x0
	s_load_dwordx2 s[12:13], s[0:1], 0x20
	s_load_dword s3, s[0:1], 0x28
	s_load_dword s20, s[0:1], 0x30
	s_mov_b32 s1, 0
	s_lshl_b32 s14, s2, 8
	v_or_b32_e32 v1, s14, v0
	v_mov_b32_e32 v3, 0
	s_waitcnt lgkmcnt(0)
	s_lshl_b32 s0, s20, 9
	v_mov_b64_e32 v[4:5], s[0:1]
	v_cmp_le_i64_e32 vcc, s[4:5], v[4:5]
	s_mov_b64 s[18:19], s[0:1]
	s_cbranch_vccnz .LBB20_3
; %bb.1:
	v_add_u32_e32 v2, s14, v1
	v_mov_b32_e32 v3, 0
	v_lshl_add_u64 v[6:7], v[2:3], 3, s[8:9]
	s_mov_b64 s[14:15], 0x800
	v_lshl_add_u64 v[4:5], s[6:7], 0, v[2:3]
	v_lshl_add_u64 v[6:7], v[6:7], 0, s[14:15]
	s_lshl_b64 s[14:15], s[0:1], 3
	s_mov_b64 s[16:17], 0
	v_mov_b64_e32 v[8:9], s[4:5]
.LBB20_2:                               ; =>This Inner Loop Header: Depth=1
	global_load_dwordx2 v[10:11], v[6:7], off offset:-2048
	global_load_dwordx2 v[12:13], v[6:7], off
	v_lshl_add_u64 v[14:15], v[4:5], 0, s[16:17]
	global_load_sbyte v2, v[14:15], off
	global_load_sbyte v16, v[14:15], off offset:256
	s_add_u32 s16, s16, s0
	s_addc_u32 s17, s17, 0
	s_add_u32 s18, s0, s16
	s_addc_u32 s19, 0, s17
	v_lshl_add_u64 v[6:7], v[6:7], 0, s[14:15]
	s_waitcnt vmcnt(3)
	v_subrev_co_u32_e32 v10, vcc, s3, v10
	s_nop 1
	v_subbrev_co_u32_e32 v11, vcc, 0, v11, vcc
	s_waitcnt vmcnt(2)
	v_subrev_co_u32_e32 v12, vcc, s3, v12
	v_lshl_add_u64 v[10:11], s[10:11], 0, v[10:11]
	s_nop 0
	v_subbrev_co_u32_e32 v13, vcc, 0, v13, vcc
	v_lshl_add_u64 v[12:13], s[10:11], 0, v[12:13]
	global_load_sbyte v14, v[10:11], off
	global_load_sbyte v15, v[12:13], off
	s_waitcnt vmcnt(3)
	v_cvt_f32_i32_e32 v2, v2
	s_waitcnt vmcnt(2)
	v_cvt_f32_i32_e32 v10, v16
	v_cmp_lt_i64_e32 vcc, s[18:19], v[8:9]
	s_and_b64 vcc, exec, vcc
	s_waitcnt vmcnt(1)
	v_cvt_f32_i32_e32 v11, v14
	s_waitcnt vmcnt(0)
	v_cvt_f32_i32_e32 v12, v15
	v_fmac_f32_e32 v3, v11, v2
	v_fmac_f32_e32 v3, v12, v10
	s_cbranch_vccnz .LBB20_2
.LBB20_3:
	v_subrev_co_u32_e32 v4, vcc, s0, v1
	s_nop 1
	v_subb_co_u32_e64 v5, s[0:1], 0, 0, vcc
	v_lshl_add_u64 v[4:5], v[4:5], 0, s[18:19]
	v_cmp_gt_i64_e32 vcc, s[4:5], v[4:5]
	s_and_saveexec_b64 s[0:1], vcc
	s_cbranch_execz .LBB20_7
; %bb.4:
	s_mov_b32 s15, 0
	s_lshl_b32 s14, s20, 8
	v_lshl_add_u64 v[6:7], v[4:5], 3, s[8:9]
	s_lshl_b64 s[16:17], s[14:15], 3
	s_mov_b64 s[8:9], 0
.LBB20_5:                               ; =>This Inner Loop Header: Depth=1
	global_load_dwordx2 v[8:9], v[6:7], off
	v_lshl_add_u64 v[10:11], s[6:7], 0, v[4:5]
	global_load_sbyte v1, v[10:11], off
	v_lshl_add_u64 v[4:5], v[4:5], 0, s[14:15]
	v_lshl_add_u64 v[6:7], v[6:7], 0, s[16:17]
	s_waitcnt vmcnt(1)
	v_subrev_co_u32_e32 v8, vcc, s3, v8
	s_nop 1
	v_subbrev_co_u32_e32 v9, vcc, 0, v9, vcc
	v_lshl_add_u64 v[8:9], s[10:11], 0, v[8:9]
	global_load_sbyte v2, v[8:9], off
	s_waitcnt vmcnt(1)
	v_cvt_f32_i32_e32 v1, v1
	v_cmp_le_i64_e32 vcc, s[4:5], v[4:5]
	s_or_b64 s[8:9], vcc, s[8:9]
	s_waitcnt vmcnt(0)
	v_cvt_f32_i32_e32 v2, v2
	v_fmac_f32_e32 v3, v2, v1
	s_andn2_b64 exec, exec, s[8:9]
	s_cbranch_execnz .LBB20_5
; %bb.6:
	s_or_b64 exec, exec, s[8:9]
.LBB20_7:
	s_or_b64 exec, exec, s[0:1]
	s_movk_i32 s0, 0x80
	v_lshlrev_b32_e32 v1, 2, v0
	v_cmp_gt_u32_e32 vcc, s0, v0
	ds_write_b32 v1, v3
	s_waitcnt lgkmcnt(0)
	s_barrier
	s_and_saveexec_b64 s[0:1], vcc
	s_cbranch_execz .LBB20_9
; %bb.8:
	ds_read2st64_b32 v[2:3], v1 offset1:2
	s_waitcnt lgkmcnt(0)
	v_add_f32_e32 v2, v2, v3
	ds_write_b32 v1, v2
.LBB20_9:
	s_or_b64 exec, exec, s[0:1]
	v_cmp_gt_u32_e32 vcc, 64, v0
	s_waitcnt lgkmcnt(0)
	s_barrier
	s_and_saveexec_b64 s[0:1], vcc
	s_cbranch_execz .LBB20_11
; %bb.10:
	ds_read2st64_b32 v[2:3], v1 offset1:1
	s_waitcnt lgkmcnt(0)
	v_add_f32_e32 v2, v2, v3
	ds_write_b32 v1, v2
.LBB20_11:
	s_or_b64 exec, exec, s[0:1]
	v_cmp_gt_u32_e32 vcc, 32, v0
	s_waitcnt lgkmcnt(0)
	s_barrier
	s_and_saveexec_b64 s[0:1], vcc
	s_cbranch_execz .LBB20_13
; %bb.12:
	ds_read2_b32 v[2:3], v1 offset1:32
	s_waitcnt lgkmcnt(0)
	v_add_f32_e32 v2, v2, v3
	ds_write_b32 v1, v2
.LBB20_13:
	s_or_b64 exec, exec, s[0:1]
	v_cmp_gt_u32_e32 vcc, 16, v0
	s_waitcnt lgkmcnt(0)
	s_barrier
	s_and_saveexec_b64 s[0:1], vcc
	s_cbranch_execz .LBB20_15
; %bb.14:
	ds_read2_b32 v[2:3], v1 offset1:16
	s_waitcnt lgkmcnt(0)
	v_add_f32_e32 v2, v2, v3
	ds_write_b32 v1, v2
.LBB20_15:
	;; [unrolled: 12-line block ×5, first 2 shown]
	s_or_b64 exec, exec, s[0:1]
	v_cmp_eq_u32_e32 vcc, 0, v0
	s_waitcnt lgkmcnt(0)
	s_barrier
	s_and_saveexec_b64 s[0:1], vcc
	s_cbranch_execz .LBB20_23
; %bb.22:
	v_mov_b32_e32 v2, 0
	ds_read_b64 v[0:1], v2
	s_waitcnt lgkmcnt(0)
	v_add_f32_e32 v0, v0, v1
	ds_write_b32 v2, v0
.LBB20_23:
	s_or_b64 exec, exec, s[0:1]
	s_waitcnt lgkmcnt(0)
	s_barrier
	s_and_saveexec_b64 s[0:1], vcc
	s_cbranch_execz .LBB20_25
; %bb.24:
	v_mov_b32_e32 v0, 0
	ds_read_b32 v1, v0
	s_mov_b32 s3, 0
	s_lshl_b64 s[0:1], s[2:3], 2
	s_add_u32 s0, s12, s0
	s_addc_u32 s1, s13, s1
	s_waitcnt lgkmcnt(0)
	global_store_dword v0, v1, s[0:1]
.LBB20_25:
	s_endpgm
	.section	.rodata,"a",@progbits
	.p2align	6, 0x0
	.amdhsa_kernel _ZN9rocsparseL17doti_kernel_part1ILj256ELj2ElaafEEvT1_PKT2_PKS1_PKT3_PT4_21rocsparse_index_base_
		.amdhsa_group_segment_fixed_size 1024
		.amdhsa_private_segment_fixed_size 0
		.amdhsa_kernarg_size 304
		.amdhsa_user_sgpr_count 2
		.amdhsa_user_sgpr_dispatch_ptr 0
		.amdhsa_user_sgpr_queue_ptr 0
		.amdhsa_user_sgpr_kernarg_segment_ptr 1
		.amdhsa_user_sgpr_dispatch_id 0
		.amdhsa_user_sgpr_kernarg_preload_length 0
		.amdhsa_user_sgpr_kernarg_preload_offset 0
		.amdhsa_user_sgpr_private_segment_size 0
		.amdhsa_uses_dynamic_stack 0
		.amdhsa_enable_private_segment 0
		.amdhsa_system_sgpr_workgroup_id_x 1
		.amdhsa_system_sgpr_workgroup_id_y 0
		.amdhsa_system_sgpr_workgroup_id_z 0
		.amdhsa_system_sgpr_workgroup_info 0
		.amdhsa_system_vgpr_workitem_id 0
		.amdhsa_next_free_vgpr 17
		.amdhsa_next_free_sgpr 21
		.amdhsa_accum_offset 20
		.amdhsa_reserve_vcc 1
		.amdhsa_float_round_mode_32 0
		.amdhsa_float_round_mode_16_64 0
		.amdhsa_float_denorm_mode_32 3
		.amdhsa_float_denorm_mode_16_64 3
		.amdhsa_dx10_clamp 1
		.amdhsa_ieee_mode 1
		.amdhsa_fp16_overflow 0
		.amdhsa_tg_split 0
		.amdhsa_exception_fp_ieee_invalid_op 0
		.amdhsa_exception_fp_denorm_src 0
		.amdhsa_exception_fp_ieee_div_zero 0
		.amdhsa_exception_fp_ieee_overflow 0
		.amdhsa_exception_fp_ieee_underflow 0
		.amdhsa_exception_fp_ieee_inexact 0
		.amdhsa_exception_int_div_zero 0
	.end_amdhsa_kernel
	.section	.text._ZN9rocsparseL17doti_kernel_part1ILj256ELj2ElaafEEvT1_PKT2_PKS1_PKT3_PT4_21rocsparse_index_base_,"axG",@progbits,_ZN9rocsparseL17doti_kernel_part1ILj256ELj2ElaafEEvT1_PKT2_PKS1_PKT3_PT4_21rocsparse_index_base_,comdat
.Lfunc_end20:
	.size	_ZN9rocsparseL17doti_kernel_part1ILj256ELj2ElaafEEvT1_PKT2_PKS1_PKT3_PT4_21rocsparse_index_base_, .Lfunc_end20-_ZN9rocsparseL17doti_kernel_part1ILj256ELj2ElaafEEvT1_PKT2_PKS1_PKT3_PT4_21rocsparse_index_base_
                                        ; -- End function
	.set _ZN9rocsparseL17doti_kernel_part1ILj256ELj2ElaafEEvT1_PKT2_PKS1_PKT3_PT4_21rocsparse_index_base_.num_vgpr, 17
	.set _ZN9rocsparseL17doti_kernel_part1ILj256ELj2ElaafEEvT1_PKT2_PKS1_PKT3_PT4_21rocsparse_index_base_.num_agpr, 0
	.set _ZN9rocsparseL17doti_kernel_part1ILj256ELj2ElaafEEvT1_PKT2_PKS1_PKT3_PT4_21rocsparse_index_base_.numbered_sgpr, 21
	.set _ZN9rocsparseL17doti_kernel_part1ILj256ELj2ElaafEEvT1_PKT2_PKS1_PKT3_PT4_21rocsparse_index_base_.num_named_barrier, 0
	.set _ZN9rocsparseL17doti_kernel_part1ILj256ELj2ElaafEEvT1_PKT2_PKS1_PKT3_PT4_21rocsparse_index_base_.private_seg_size, 0
	.set _ZN9rocsparseL17doti_kernel_part1ILj256ELj2ElaafEEvT1_PKT2_PKS1_PKT3_PT4_21rocsparse_index_base_.uses_vcc, 1
	.set _ZN9rocsparseL17doti_kernel_part1ILj256ELj2ElaafEEvT1_PKT2_PKS1_PKT3_PT4_21rocsparse_index_base_.uses_flat_scratch, 0
	.set _ZN9rocsparseL17doti_kernel_part1ILj256ELj2ElaafEEvT1_PKT2_PKS1_PKT3_PT4_21rocsparse_index_base_.has_dyn_sized_stack, 0
	.set _ZN9rocsparseL17doti_kernel_part1ILj256ELj2ElaafEEvT1_PKT2_PKS1_PKT3_PT4_21rocsparse_index_base_.has_recursion, 0
	.set _ZN9rocsparseL17doti_kernel_part1ILj256ELj2ElaafEEvT1_PKT2_PKS1_PKT3_PT4_21rocsparse_index_base_.has_indirect_call, 0
	.section	.AMDGPU.csdata,"",@progbits
; Kernel info:
; codeLenInByte = 944
; TotalNumSgprs: 27
; NumVgprs: 17
; NumAgprs: 0
; TotalNumVgprs: 17
; ScratchSize: 0
; MemoryBound: 0
; FloatMode: 240
; IeeeMode: 1
; LDSByteSize: 1024 bytes/workgroup (compile time only)
; SGPRBlocks: 3
; VGPRBlocks: 2
; NumSGPRsForWavesPerEU: 27
; NumVGPRsForWavesPerEU: 17
; AccumOffset: 20
; Occupancy: 8
; WaveLimiterHint : 1
; COMPUTE_PGM_RSRC2:SCRATCH_EN: 0
; COMPUTE_PGM_RSRC2:USER_SGPR: 2
; COMPUTE_PGM_RSRC2:TRAP_HANDLER: 0
; COMPUTE_PGM_RSRC2:TGID_X_EN: 1
; COMPUTE_PGM_RSRC2:TGID_Y_EN: 0
; COMPUTE_PGM_RSRC2:TGID_Z_EN: 0
; COMPUTE_PGM_RSRC2:TIDIG_COMP_CNT: 0
; COMPUTE_PGM_RSRC3_GFX90A:ACCUM_OFFSET: 4
; COMPUTE_PGM_RSRC3_GFX90A:TG_SPLIT: 0
	.section	.AMDGPU.gpr_maximums,"",@progbits
	.set amdgpu.max_num_vgpr, 0
	.set amdgpu.max_num_agpr, 0
	.set amdgpu.max_num_sgpr, 0
	.section	.AMDGPU.csdata,"",@progbits
	.type	__hip_cuid_69e342c664172591,@object ; @__hip_cuid_69e342c664172591
	.section	.bss,"aw",@nobits
	.globl	__hip_cuid_69e342c664172591
__hip_cuid_69e342c664172591:
	.byte	0                               ; 0x0
	.size	__hip_cuid_69e342c664172591, 1

	.ident	"AMD clang version 22.0.0git (https://github.com/RadeonOpenCompute/llvm-project roc-7.2.4 26084 f58b06dce1f9c15707c5f808fd002e18c2accf7e)"
	.section	".note.GNU-stack","",@progbits
	.addrsig
	.addrsig_sym __hip_cuid_69e342c664172591
	.amdgpu_metadata
---
amdhsa.kernels:
  - .agpr_count:     0
    .args:
      - .offset:         0
        .size:           4
        .value_kind:     by_value
      - .address_space:  global
        .offset:         8
        .size:           8
        .value_kind:     global_buffer
      - .address_space:  global
        .offset:         16
        .size:           8
        .value_kind:     global_buffer
      - .address_space:  global
        .offset:         24
        .size:           8
        .value_kind:     global_buffer
      - .address_space:  global
        .offset:         32
        .size:           8
        .value_kind:     global_buffer
      - .offset:         40
        .size:           4
        .value_kind:     by_value
      - .offset:         48
        .size:           4
        .value_kind:     hidden_block_count_x
      - .offset:         52
        .size:           4
        .value_kind:     hidden_block_count_y
      - .offset:         56
        .size:           4
        .value_kind:     hidden_block_count_z
      - .offset:         60
        .size:           2
        .value_kind:     hidden_group_size_x
      - .offset:         62
        .size:           2
        .value_kind:     hidden_group_size_y
      - .offset:         64
        .size:           2
        .value_kind:     hidden_group_size_z
      - .offset:         66
        .size:           2
        .value_kind:     hidden_remainder_x
      - .offset:         68
        .size:           2
        .value_kind:     hidden_remainder_y
      - .offset:         70
        .size:           2
        .value_kind:     hidden_remainder_z
      - .offset:         88
        .size:           8
        .value_kind:     hidden_global_offset_x
      - .offset:         96
        .size:           8
        .value_kind:     hidden_global_offset_y
      - .offset:         104
        .size:           8
        .value_kind:     hidden_global_offset_z
      - .offset:         112
        .size:           2
        .value_kind:     hidden_grid_dims
    .group_segment_fixed_size: 1024
    .kernarg_segment_align: 8
    .kernarg_segment_size: 304
    .language:       OpenCL C
    .language_version:
      - 2
      - 0
    .max_flat_workgroup_size: 256
    .name:           _ZN9rocsparseL17doti_kernel_part1ILj256ELj2EifffEEvT1_PKT2_PKS1_PKT3_PT4_21rocsparse_index_base_
    .private_segment_fixed_size: 0
    .sgpr_count:     22
    .sgpr_spill_count: 0
    .symbol:         _ZN9rocsparseL17doti_kernel_part1ILj256ELj2EifffEEvT1_PKT2_PKS1_PKT3_PT4_21rocsparse_index_base_.kd
    .uniform_work_group_size: 1
    .uses_dynamic_stack: false
    .vgpr_count:     13
    .vgpr_spill_count: 0
    .wavefront_size: 64
  - .agpr_count:     0
    .args:
      - .address_space:  global
        .offset:         0
        .size:           8
        .value_kind:     global_buffer
      - .address_space:  global
        .offset:         8
        .size:           8
        .value_kind:     global_buffer
    .group_segment_fixed_size: 1024
    .kernarg_segment_align: 8
    .kernarg_segment_size: 16
    .language:       OpenCL C
    .language_version:
      - 2
      - 0
    .max_flat_workgroup_size: 256
    .name:           _ZN9rocsparseL17doti_kernel_part2ILj256EfEEvPT0_S2_
    .private_segment_fixed_size: 0
    .sgpr_count:     12
    .sgpr_spill_count: 0
    .symbol:         _ZN9rocsparseL17doti_kernel_part2ILj256EfEEvPT0_S2_.kd
    .uniform_work_group_size: 1
    .uses_dynamic_stack: false
    .vgpr_count:     4
    .vgpr_spill_count: 0
    .wavefront_size: 64
  - .agpr_count:     0
    .args:
      - .offset:         0
        .size:           8
        .value_kind:     by_value
      - .address_space:  global
        .offset:         8
        .size:           8
        .value_kind:     global_buffer
      - .address_space:  global
        .offset:         16
        .size:           8
        .value_kind:     global_buffer
      - .address_space:  global
        .offset:         24
        .size:           8
        .value_kind:     global_buffer
      - .address_space:  global
        .offset:         32
        .size:           8
        .value_kind:     global_buffer
      - .offset:         40
        .size:           4
        .value_kind:     by_value
      - .offset:         48
        .size:           4
        .value_kind:     hidden_block_count_x
      - .offset:         52
        .size:           4
        .value_kind:     hidden_block_count_y
      - .offset:         56
        .size:           4
        .value_kind:     hidden_block_count_z
      - .offset:         60
        .size:           2
        .value_kind:     hidden_group_size_x
      - .offset:         62
        .size:           2
        .value_kind:     hidden_group_size_y
      - .offset:         64
        .size:           2
        .value_kind:     hidden_group_size_z
      - .offset:         66
        .size:           2
        .value_kind:     hidden_remainder_x
      - .offset:         68
        .size:           2
        .value_kind:     hidden_remainder_y
      - .offset:         70
        .size:           2
        .value_kind:     hidden_remainder_z
      - .offset:         88
        .size:           8
        .value_kind:     hidden_global_offset_x
      - .offset:         96
        .size:           8
        .value_kind:     hidden_global_offset_y
      - .offset:         104
        .size:           8
        .value_kind:     hidden_global_offset_z
      - .offset:         112
        .size:           2
        .value_kind:     hidden_grid_dims
    .group_segment_fixed_size: 1024
    .kernarg_segment_align: 8
    .kernarg_segment_size: 304
    .language:       OpenCL C
    .language_version:
      - 2
      - 0
    .max_flat_workgroup_size: 256
    .name:           _ZN9rocsparseL17doti_kernel_part1ILj256ELj2ElfffEEvT1_PKT2_PKS1_PKT3_PT4_21rocsparse_index_base_
    .private_segment_fixed_size: 0
    .sgpr_count:     27
    .sgpr_spill_count: 0
    .symbol:         _ZN9rocsparseL17doti_kernel_part1ILj256ELj2ElfffEEvT1_PKT2_PKS1_PKT3_PT4_21rocsparse_index_base_.kd
    .uniform_work_group_size: 1
    .uses_dynamic_stack: false
    .vgpr_count:     17
    .vgpr_spill_count: 0
    .wavefront_size: 64
  - .agpr_count:     0
    .args:
      - .offset:         0
        .size:           4
        .value_kind:     by_value
      - .address_space:  global
        .offset:         8
        .size:           8
        .value_kind:     global_buffer
      - .address_space:  global
        .offset:         16
        .size:           8
        .value_kind:     global_buffer
      - .address_space:  global
        .offset:         24
        .size:           8
        .value_kind:     global_buffer
      - .address_space:  global
        .offset:         32
        .size:           8
        .value_kind:     global_buffer
      - .offset:         40
        .size:           4
        .value_kind:     by_value
      - .offset:         48
        .size:           4
        .value_kind:     hidden_block_count_x
      - .offset:         52
        .size:           4
        .value_kind:     hidden_block_count_y
      - .offset:         56
        .size:           4
        .value_kind:     hidden_block_count_z
      - .offset:         60
        .size:           2
        .value_kind:     hidden_group_size_x
      - .offset:         62
        .size:           2
        .value_kind:     hidden_group_size_y
      - .offset:         64
        .size:           2
        .value_kind:     hidden_group_size_z
      - .offset:         66
        .size:           2
        .value_kind:     hidden_remainder_x
      - .offset:         68
        .size:           2
        .value_kind:     hidden_remainder_y
      - .offset:         70
        .size:           2
        .value_kind:     hidden_remainder_z
      - .offset:         88
        .size:           8
        .value_kind:     hidden_global_offset_x
      - .offset:         96
        .size:           8
        .value_kind:     hidden_global_offset_y
      - .offset:         104
        .size:           8
        .value_kind:     hidden_global_offset_z
      - .offset:         112
        .size:           2
        .value_kind:     hidden_grid_dims
    .group_segment_fixed_size: 2048
    .kernarg_segment_align: 8
    .kernarg_segment_size: 304
    .language:       OpenCL C
    .language_version:
      - 2
      - 0
    .max_flat_workgroup_size: 256
    .name:           _ZN9rocsparseL17doti_kernel_part1ILj256ELj2EidddEEvT1_PKT2_PKS1_PKT3_PT4_21rocsparse_index_base_
    .private_segment_fixed_size: 0
    .sgpr_count:     22
    .sgpr_spill_count: 0
    .symbol:         _ZN9rocsparseL17doti_kernel_part1ILj256ELj2EidddEEvT1_PKT2_PKS1_PKT3_PT4_21rocsparse_index_base_.kd
    .uniform_work_group_size: 1
    .uses_dynamic_stack: false
    .vgpr_count:     14
    .vgpr_spill_count: 0
    .wavefront_size: 64
  - .agpr_count:     0
    .args:
      - .address_space:  global
        .offset:         0
        .size:           8
        .value_kind:     global_buffer
      - .address_space:  global
        .offset:         8
        .size:           8
        .value_kind:     global_buffer
    .group_segment_fixed_size: 2048
    .kernarg_segment_align: 8
    .kernarg_segment_size: 16
    .language:       OpenCL C
    .language_version:
      - 2
      - 0
    .max_flat_workgroup_size: 256
    .name:           _ZN9rocsparseL17doti_kernel_part2ILj256EdEEvPT0_S2_
    .private_segment_fixed_size: 0
    .sgpr_count:     12
    .sgpr_spill_count: 0
    .symbol:         _ZN9rocsparseL17doti_kernel_part2ILj256EdEEvPT0_S2_.kd
    .uniform_work_group_size: 1
    .uses_dynamic_stack: false
    .vgpr_count:     6
    .vgpr_spill_count: 0
    .wavefront_size: 64
  - .agpr_count:     0
    .args:
      - .offset:         0
        .size:           8
        .value_kind:     by_value
      - .address_space:  global
        .offset:         8
        .size:           8
        .value_kind:     global_buffer
      - .address_space:  global
        .offset:         16
        .size:           8
        .value_kind:     global_buffer
      - .address_space:  global
        .offset:         24
        .size:           8
        .value_kind:     global_buffer
      - .address_space:  global
        .offset:         32
        .size:           8
        .value_kind:     global_buffer
      - .offset:         40
        .size:           4
        .value_kind:     by_value
      - .offset:         48
        .size:           4
        .value_kind:     hidden_block_count_x
      - .offset:         52
        .size:           4
        .value_kind:     hidden_block_count_y
      - .offset:         56
        .size:           4
        .value_kind:     hidden_block_count_z
      - .offset:         60
        .size:           2
        .value_kind:     hidden_group_size_x
      - .offset:         62
        .size:           2
        .value_kind:     hidden_group_size_y
      - .offset:         64
        .size:           2
        .value_kind:     hidden_group_size_z
      - .offset:         66
        .size:           2
        .value_kind:     hidden_remainder_x
      - .offset:         68
        .size:           2
        .value_kind:     hidden_remainder_y
      - .offset:         70
        .size:           2
        .value_kind:     hidden_remainder_z
      - .offset:         88
        .size:           8
        .value_kind:     hidden_global_offset_x
      - .offset:         96
        .size:           8
        .value_kind:     hidden_global_offset_y
      - .offset:         104
        .size:           8
        .value_kind:     hidden_global_offset_z
      - .offset:         112
        .size:           2
        .value_kind:     hidden_grid_dims
    .group_segment_fixed_size: 2048
    .kernarg_segment_align: 8
    .kernarg_segment_size: 304
    .language:       OpenCL C
    .language_version:
      - 2
      - 0
    .max_flat_workgroup_size: 256
    .name:           _ZN9rocsparseL17doti_kernel_part1ILj256ELj2EldddEEvT1_PKT2_PKS1_PKT3_PT4_21rocsparse_index_base_
    .private_segment_fixed_size: 0
    .sgpr_count:     26
    .sgpr_spill_count: 0
    .symbol:         _ZN9rocsparseL17doti_kernel_part1ILj256ELj2EldddEEvT1_PKT2_PKS1_PKT3_PT4_21rocsparse_index_base_.kd
    .uniform_work_group_size: 1
    .uses_dynamic_stack: false
    .vgpr_count:     20
    .vgpr_spill_count: 0
    .wavefront_size: 64
  - .agpr_count:     0
    .args:
      - .offset:         0
        .size:           4
        .value_kind:     by_value
      - .address_space:  global
        .offset:         8
        .size:           8
        .value_kind:     global_buffer
      - .address_space:  global
        .offset:         16
        .size:           8
        .value_kind:     global_buffer
      - .address_space:  global
        .offset:         24
        .size:           8
        .value_kind:     global_buffer
      - .address_space:  global
        .offset:         32
        .size:           8
        .value_kind:     global_buffer
      - .offset:         40
        .size:           4
        .value_kind:     by_value
      - .offset:         48
        .size:           4
        .value_kind:     hidden_block_count_x
      - .offset:         52
        .size:           4
        .value_kind:     hidden_block_count_y
      - .offset:         56
        .size:           4
        .value_kind:     hidden_block_count_z
      - .offset:         60
        .size:           2
        .value_kind:     hidden_group_size_x
      - .offset:         62
        .size:           2
        .value_kind:     hidden_group_size_y
      - .offset:         64
        .size:           2
        .value_kind:     hidden_group_size_z
      - .offset:         66
        .size:           2
        .value_kind:     hidden_remainder_x
      - .offset:         68
        .size:           2
        .value_kind:     hidden_remainder_y
      - .offset:         70
        .size:           2
        .value_kind:     hidden_remainder_z
      - .offset:         88
        .size:           8
        .value_kind:     hidden_global_offset_x
      - .offset:         96
        .size:           8
        .value_kind:     hidden_global_offset_y
      - .offset:         104
        .size:           8
        .value_kind:     hidden_global_offset_z
      - .offset:         112
        .size:           2
        .value_kind:     hidden_grid_dims
    .group_segment_fixed_size: 2048
    .kernarg_segment_align: 8
    .kernarg_segment_size: 304
    .language:       OpenCL C
    .language_version:
      - 2
      - 0
    .max_flat_workgroup_size: 256
    .name:           _ZN9rocsparseL17doti_kernel_part1ILj256ELj2Ei21rocsparse_complex_numIfES2_S2_EEvT1_PKT2_PKS3_PKT3_PT4_21rocsparse_index_base_
    .private_segment_fixed_size: 0
    .sgpr_count:     22
    .sgpr_spill_count: 0
    .symbol:         _ZN9rocsparseL17doti_kernel_part1ILj256ELj2Ei21rocsparse_complex_numIfES2_S2_EEvT1_PKT2_PKS3_PKT3_PT4_21rocsparse_index_base_.kd
    .uniform_work_group_size: 1
    .uses_dynamic_stack: false
    .vgpr_count:     16
    .vgpr_spill_count: 0
    .wavefront_size: 64
  - .agpr_count:     0
    .args:
      - .address_space:  global
        .offset:         0
        .size:           8
        .value_kind:     global_buffer
      - .address_space:  global
        .offset:         8
        .size:           8
        .value_kind:     global_buffer
    .group_segment_fixed_size: 2048
    .kernarg_segment_align: 8
    .kernarg_segment_size: 16
    .language:       OpenCL C
    .language_version:
      - 2
      - 0
    .max_flat_workgroup_size: 256
    .name:           _ZN9rocsparseL17doti_kernel_part2ILj256E21rocsparse_complex_numIfEEEvPT0_S4_
    .private_segment_fixed_size: 0
    .sgpr_count:     12
    .sgpr_spill_count: 0
    .symbol:         _ZN9rocsparseL17doti_kernel_part2ILj256E21rocsparse_complex_numIfEEEvPT0_S4_.kd
    .uniform_work_group_size: 1
    .uses_dynamic_stack: false
    .vgpr_count:     6
    .vgpr_spill_count: 0
    .wavefront_size: 64
  - .agpr_count:     0
    .args:
      - .offset:         0
        .size:           8
        .value_kind:     by_value
      - .address_space:  global
        .offset:         8
        .size:           8
        .value_kind:     global_buffer
      - .address_space:  global
        .offset:         16
        .size:           8
        .value_kind:     global_buffer
      - .address_space:  global
        .offset:         24
        .size:           8
        .value_kind:     global_buffer
      - .address_space:  global
        .offset:         32
        .size:           8
        .value_kind:     global_buffer
      - .offset:         40
        .size:           4
        .value_kind:     by_value
      - .offset:         48
        .size:           4
        .value_kind:     hidden_block_count_x
      - .offset:         52
        .size:           4
        .value_kind:     hidden_block_count_y
      - .offset:         56
        .size:           4
        .value_kind:     hidden_block_count_z
      - .offset:         60
        .size:           2
        .value_kind:     hidden_group_size_x
      - .offset:         62
        .size:           2
        .value_kind:     hidden_group_size_y
      - .offset:         64
        .size:           2
        .value_kind:     hidden_group_size_z
      - .offset:         66
        .size:           2
        .value_kind:     hidden_remainder_x
      - .offset:         68
        .size:           2
        .value_kind:     hidden_remainder_y
      - .offset:         70
        .size:           2
        .value_kind:     hidden_remainder_z
      - .offset:         88
        .size:           8
        .value_kind:     hidden_global_offset_x
      - .offset:         96
        .size:           8
        .value_kind:     hidden_global_offset_y
      - .offset:         104
        .size:           8
        .value_kind:     hidden_global_offset_z
      - .offset:         112
        .size:           2
        .value_kind:     hidden_grid_dims
    .group_segment_fixed_size: 2048
    .kernarg_segment_align: 8
    .kernarg_segment_size: 304
    .language:       OpenCL C
    .language_version:
      - 2
      - 0
    .max_flat_workgroup_size: 256
    .name:           _ZN9rocsparseL17doti_kernel_part1ILj256ELj2El21rocsparse_complex_numIfES2_S2_EEvT1_PKT2_PKS3_PKT3_PT4_21rocsparse_index_base_
    .private_segment_fixed_size: 0
    .sgpr_count:     27
    .sgpr_spill_count: 0
    .symbol:         _ZN9rocsparseL17doti_kernel_part1ILj256ELj2El21rocsparse_complex_numIfES2_S2_EEvT1_PKT2_PKS3_PKT3_PT4_21rocsparse_index_base_.kd
    .uniform_work_group_size: 1
    .uses_dynamic_stack: false
    .vgpr_count:     20
    .vgpr_spill_count: 0
    .wavefront_size: 64
  - .agpr_count:     0
    .args:
      - .offset:         0
        .size:           4
        .value_kind:     by_value
      - .address_space:  global
        .offset:         8
        .size:           8
        .value_kind:     global_buffer
      - .address_space:  global
        .offset:         16
        .size:           8
        .value_kind:     global_buffer
      - .address_space:  global
        .offset:         24
        .size:           8
        .value_kind:     global_buffer
      - .address_space:  global
        .offset:         32
        .size:           8
        .value_kind:     global_buffer
      - .offset:         40
        .size:           4
        .value_kind:     by_value
      - .offset:         48
        .size:           4
        .value_kind:     hidden_block_count_x
      - .offset:         52
        .size:           4
        .value_kind:     hidden_block_count_y
      - .offset:         56
        .size:           4
        .value_kind:     hidden_block_count_z
      - .offset:         60
        .size:           2
        .value_kind:     hidden_group_size_x
      - .offset:         62
        .size:           2
        .value_kind:     hidden_group_size_y
      - .offset:         64
        .size:           2
        .value_kind:     hidden_group_size_z
      - .offset:         66
        .size:           2
        .value_kind:     hidden_remainder_x
      - .offset:         68
        .size:           2
        .value_kind:     hidden_remainder_y
      - .offset:         70
        .size:           2
        .value_kind:     hidden_remainder_z
      - .offset:         88
        .size:           8
        .value_kind:     hidden_global_offset_x
      - .offset:         96
        .size:           8
        .value_kind:     hidden_global_offset_y
      - .offset:         104
        .size:           8
        .value_kind:     hidden_global_offset_z
      - .offset:         112
        .size:           2
        .value_kind:     hidden_grid_dims
    .group_segment_fixed_size: 4096
    .kernarg_segment_align: 8
    .kernarg_segment_size: 304
    .language:       OpenCL C
    .language_version:
      - 2
      - 0
    .max_flat_workgroup_size: 256
    .name:           _ZN9rocsparseL17doti_kernel_part1ILj256ELj2Ei21rocsparse_complex_numIdES2_S2_EEvT1_PKT2_PKS3_PKT3_PT4_21rocsparse_index_base_
    .private_segment_fixed_size: 0
    .sgpr_count:     22
    .sgpr_spill_count: 0
    .symbol:         _ZN9rocsparseL17doti_kernel_part1ILj256ELj2Ei21rocsparse_complex_numIdES2_S2_EEvT1_PKT2_PKS3_PKT3_PT4_21rocsparse_index_base_.kd
    .uniform_work_group_size: 1
    .uses_dynamic_stack: false
    .vgpr_count:     24
    .vgpr_spill_count: 0
    .wavefront_size: 64
  - .agpr_count:     0
    .args:
      - .address_space:  global
        .offset:         0
        .size:           8
        .value_kind:     global_buffer
      - .address_space:  global
        .offset:         8
        .size:           8
        .value_kind:     global_buffer
    .group_segment_fixed_size: 4096
    .kernarg_segment_align: 8
    .kernarg_segment_size: 16
    .language:       OpenCL C
    .language_version:
      - 2
      - 0
    .max_flat_workgroup_size: 256
    .name:           _ZN9rocsparseL17doti_kernel_part2ILj256E21rocsparse_complex_numIdEEEvPT0_S4_
    .private_segment_fixed_size: 0
    .sgpr_count:     12
    .sgpr_spill_count: 0
    .symbol:         _ZN9rocsparseL17doti_kernel_part2ILj256E21rocsparse_complex_numIdEEEvPT0_S4_.kd
    .uniform_work_group_size: 1
    .uses_dynamic_stack: false
    .vgpr_count:     10
    .vgpr_spill_count: 0
    .wavefront_size: 64
  - .agpr_count:     0
    .args:
      - .offset:         0
        .size:           8
        .value_kind:     by_value
      - .address_space:  global
        .offset:         8
        .size:           8
        .value_kind:     global_buffer
      - .address_space:  global
        .offset:         16
        .size:           8
        .value_kind:     global_buffer
      - .address_space:  global
        .offset:         24
        .size:           8
        .value_kind:     global_buffer
      - .address_space:  global
        .offset:         32
        .size:           8
        .value_kind:     global_buffer
      - .offset:         40
        .size:           4
        .value_kind:     by_value
      - .offset:         48
        .size:           4
        .value_kind:     hidden_block_count_x
      - .offset:         52
        .size:           4
        .value_kind:     hidden_block_count_y
      - .offset:         56
        .size:           4
        .value_kind:     hidden_block_count_z
      - .offset:         60
        .size:           2
        .value_kind:     hidden_group_size_x
      - .offset:         62
        .size:           2
        .value_kind:     hidden_group_size_y
      - .offset:         64
        .size:           2
        .value_kind:     hidden_group_size_z
      - .offset:         66
        .size:           2
        .value_kind:     hidden_remainder_x
      - .offset:         68
        .size:           2
        .value_kind:     hidden_remainder_y
      - .offset:         70
        .size:           2
        .value_kind:     hidden_remainder_z
      - .offset:         88
        .size:           8
        .value_kind:     hidden_global_offset_x
      - .offset:         96
        .size:           8
        .value_kind:     hidden_global_offset_y
      - .offset:         104
        .size:           8
        .value_kind:     hidden_global_offset_z
      - .offset:         112
        .size:           2
        .value_kind:     hidden_grid_dims
    .group_segment_fixed_size: 4096
    .kernarg_segment_align: 8
    .kernarg_segment_size: 304
    .language:       OpenCL C
    .language_version:
      - 2
      - 0
    .max_flat_workgroup_size: 256
    .name:           _ZN9rocsparseL17doti_kernel_part1ILj256ELj2El21rocsparse_complex_numIdES2_S2_EEvT1_PKT2_PKS3_PKT3_PT4_21rocsparse_index_base_
    .private_segment_fixed_size: 0
    .sgpr_count:     27
    .sgpr_spill_count: 0
    .symbol:         _ZN9rocsparseL17doti_kernel_part1ILj256ELj2El21rocsparse_complex_numIdES2_S2_EEvT1_PKT2_PKS3_PKT3_PT4_21rocsparse_index_base_.kd
    .uniform_work_group_size: 1
    .uses_dynamic_stack: false
    .vgpr_count:     32
    .vgpr_spill_count: 0
    .wavefront_size: 64
  - .agpr_count:     0
    .args:
      - .offset:         0
        .size:           4
        .value_kind:     by_value
      - .address_space:  global
        .offset:         8
        .size:           8
        .value_kind:     global_buffer
      - .address_space:  global
        .offset:         16
        .size:           8
        .value_kind:     global_buffer
      - .address_space:  global
        .offset:         24
        .size:           8
        .value_kind:     global_buffer
      - .address_space:  global
        .offset:         32
        .size:           8
        .value_kind:     global_buffer
      - .offset:         40
        .size:           4
        .value_kind:     by_value
      - .offset:         48
        .size:           4
        .value_kind:     hidden_block_count_x
      - .offset:         52
        .size:           4
        .value_kind:     hidden_block_count_y
      - .offset:         56
        .size:           4
        .value_kind:     hidden_block_count_z
      - .offset:         60
        .size:           2
        .value_kind:     hidden_group_size_x
      - .offset:         62
        .size:           2
        .value_kind:     hidden_group_size_y
      - .offset:         64
        .size:           2
        .value_kind:     hidden_group_size_z
      - .offset:         66
        .size:           2
        .value_kind:     hidden_remainder_x
      - .offset:         68
        .size:           2
        .value_kind:     hidden_remainder_y
      - .offset:         70
        .size:           2
        .value_kind:     hidden_remainder_z
      - .offset:         88
        .size:           8
        .value_kind:     hidden_global_offset_x
      - .offset:         96
        .size:           8
        .value_kind:     hidden_global_offset_y
      - .offset:         104
        .size:           8
        .value_kind:     hidden_global_offset_z
      - .offset:         112
        .size:           2
        .value_kind:     hidden_grid_dims
    .group_segment_fixed_size: 1024
    .kernarg_segment_align: 8
    .kernarg_segment_size: 304
    .language:       OpenCL C
    .language_version:
      - 2
      - 0
    .max_flat_workgroup_size: 256
    .name:           _ZN9rocsparseL17doti_kernel_part1ILj256ELj2EiaaiEEvT1_PKT2_PKS1_PKT3_PT4_21rocsparse_index_base_
    .private_segment_fixed_size: 0
    .sgpr_count:     22
    .sgpr_spill_count: 0
    .symbol:         _ZN9rocsparseL17doti_kernel_part1ILj256ELj2EiaaiEEvT1_PKT2_PKS1_PKT3_PT4_21rocsparse_index_base_.kd
    .uniform_work_group_size: 1
    .uses_dynamic_stack: false
    .vgpr_count:     12
    .vgpr_spill_count: 0
    .wavefront_size: 64
  - .agpr_count:     0
    .args:
      - .address_space:  global
        .offset:         0
        .size:           8
        .value_kind:     global_buffer
      - .address_space:  global
        .offset:         8
        .size:           8
        .value_kind:     global_buffer
    .group_segment_fixed_size: 1024
    .kernarg_segment_align: 8
    .kernarg_segment_size: 16
    .language:       OpenCL C
    .language_version:
      - 2
      - 0
    .max_flat_workgroup_size: 256
    .name:           _ZN9rocsparseL17doti_kernel_part2ILj256EiEEvPT0_S2_
    .private_segment_fixed_size: 0
    .sgpr_count:     12
    .sgpr_spill_count: 0
    .symbol:         _ZN9rocsparseL17doti_kernel_part2ILj256EiEEvPT0_S2_.kd
    .uniform_work_group_size: 1
    .uses_dynamic_stack: false
    .vgpr_count:     4
    .vgpr_spill_count: 0
    .wavefront_size: 64
  - .agpr_count:     0
    .args:
      - .offset:         0
        .size:           8
        .value_kind:     by_value
      - .address_space:  global
        .offset:         8
        .size:           8
        .value_kind:     global_buffer
      - .address_space:  global
        .offset:         16
        .size:           8
        .value_kind:     global_buffer
      - .address_space:  global
        .offset:         24
        .size:           8
        .value_kind:     global_buffer
      - .address_space:  global
        .offset:         32
        .size:           8
        .value_kind:     global_buffer
      - .offset:         40
        .size:           4
        .value_kind:     by_value
      - .offset:         48
        .size:           4
        .value_kind:     hidden_block_count_x
      - .offset:         52
        .size:           4
        .value_kind:     hidden_block_count_y
      - .offset:         56
        .size:           4
        .value_kind:     hidden_block_count_z
      - .offset:         60
        .size:           2
        .value_kind:     hidden_group_size_x
      - .offset:         62
        .size:           2
        .value_kind:     hidden_group_size_y
      - .offset:         64
        .size:           2
        .value_kind:     hidden_group_size_z
      - .offset:         66
        .size:           2
        .value_kind:     hidden_remainder_x
      - .offset:         68
        .size:           2
        .value_kind:     hidden_remainder_y
      - .offset:         70
        .size:           2
        .value_kind:     hidden_remainder_z
      - .offset:         88
        .size:           8
        .value_kind:     hidden_global_offset_x
      - .offset:         96
        .size:           8
        .value_kind:     hidden_global_offset_y
      - .offset:         104
        .size:           8
        .value_kind:     hidden_global_offset_z
      - .offset:         112
        .size:           2
        .value_kind:     hidden_grid_dims
    .group_segment_fixed_size: 1024
    .kernarg_segment_align: 8
    .kernarg_segment_size: 304
    .language:       OpenCL C
    .language_version:
      - 2
      - 0
    .max_flat_workgroup_size: 256
    .name:           _ZN9rocsparseL17doti_kernel_part1ILj256ELj2ElaaiEEvT1_PKT2_PKS1_PKT3_PT4_21rocsparse_index_base_
    .private_segment_fixed_size: 0
    .sgpr_count:     27
    .sgpr_spill_count: 0
    .symbol:         _ZN9rocsparseL17doti_kernel_part1ILj256ELj2ElaaiEEvT1_PKT2_PKS1_PKT3_PT4_21rocsparse_index_base_.kd
    .uniform_work_group_size: 1
    .uses_dynamic_stack: false
    .vgpr_count:     17
    .vgpr_spill_count: 0
    .wavefront_size: 64
  - .agpr_count:     0
    .args:
      - .offset:         0
        .size:           4
        .value_kind:     by_value
      - .address_space:  global
        .offset:         8
        .size:           8
        .value_kind:     global_buffer
      - .address_space:  global
        .offset:         16
        .size:           8
        .value_kind:     global_buffer
      - .address_space:  global
        .offset:         24
        .size:           8
        .value_kind:     global_buffer
      - .address_space:  global
        .offset:         32
        .size:           8
        .value_kind:     global_buffer
      - .offset:         40
        .size:           4
        .value_kind:     by_value
      - .offset:         48
        .size:           4
        .value_kind:     hidden_block_count_x
      - .offset:         52
        .size:           4
        .value_kind:     hidden_block_count_y
      - .offset:         56
        .size:           4
        .value_kind:     hidden_block_count_z
      - .offset:         60
        .size:           2
        .value_kind:     hidden_group_size_x
      - .offset:         62
        .size:           2
        .value_kind:     hidden_group_size_y
      - .offset:         64
        .size:           2
        .value_kind:     hidden_group_size_z
      - .offset:         66
        .size:           2
        .value_kind:     hidden_remainder_x
      - .offset:         68
        .size:           2
        .value_kind:     hidden_remainder_y
      - .offset:         70
        .size:           2
        .value_kind:     hidden_remainder_z
      - .offset:         88
        .size:           8
        .value_kind:     hidden_global_offset_x
      - .offset:         96
        .size:           8
        .value_kind:     hidden_global_offset_y
      - .offset:         104
        .size:           8
        .value_kind:     hidden_global_offset_z
      - .offset:         112
        .size:           2
        .value_kind:     hidden_grid_dims
    .group_segment_fixed_size: 1024
    .kernarg_segment_align: 8
    .kernarg_segment_size: 304
    .language:       OpenCL C
    .language_version:
      - 2
      - 0
    .max_flat_workgroup_size: 256
    .name:           _ZN9rocsparseL17doti_kernel_part1ILj256ELj2EiDF16_DF16_fEEvT1_PKT2_PKS1_PKT3_PT4_21rocsparse_index_base_
    .private_segment_fixed_size: 0
    .sgpr_count:     22
    .sgpr_spill_count: 0
    .symbol:         _ZN9rocsparseL17doti_kernel_part1ILj256ELj2EiDF16_DF16_fEEvT1_PKT2_PKS1_PKT3_PT4_21rocsparse_index_base_.kd
    .uniform_work_group_size: 1
    .uses_dynamic_stack: false
    .vgpr_count:     12
    .vgpr_spill_count: 0
    .wavefront_size: 64
  - .agpr_count:     0
    .args:
      - .offset:         0
        .size:           8
        .value_kind:     by_value
      - .address_space:  global
        .offset:         8
        .size:           8
        .value_kind:     global_buffer
      - .address_space:  global
        .offset:         16
        .size:           8
        .value_kind:     global_buffer
      - .address_space:  global
        .offset:         24
        .size:           8
        .value_kind:     global_buffer
      - .address_space:  global
        .offset:         32
        .size:           8
        .value_kind:     global_buffer
      - .offset:         40
        .size:           4
        .value_kind:     by_value
      - .offset:         48
        .size:           4
        .value_kind:     hidden_block_count_x
      - .offset:         52
        .size:           4
        .value_kind:     hidden_block_count_y
      - .offset:         56
        .size:           4
        .value_kind:     hidden_block_count_z
      - .offset:         60
        .size:           2
        .value_kind:     hidden_group_size_x
      - .offset:         62
        .size:           2
        .value_kind:     hidden_group_size_y
      - .offset:         64
        .size:           2
        .value_kind:     hidden_group_size_z
      - .offset:         66
        .size:           2
        .value_kind:     hidden_remainder_x
      - .offset:         68
        .size:           2
        .value_kind:     hidden_remainder_y
      - .offset:         70
        .size:           2
        .value_kind:     hidden_remainder_z
      - .offset:         88
        .size:           8
        .value_kind:     hidden_global_offset_x
      - .offset:         96
        .size:           8
        .value_kind:     hidden_global_offset_y
      - .offset:         104
        .size:           8
        .value_kind:     hidden_global_offset_z
      - .offset:         112
        .size:           2
        .value_kind:     hidden_grid_dims
    .group_segment_fixed_size: 1024
    .kernarg_segment_align: 8
    .kernarg_segment_size: 304
    .language:       OpenCL C
    .language_version:
      - 2
      - 0
    .max_flat_workgroup_size: 256
    .name:           _ZN9rocsparseL17doti_kernel_part1ILj256ELj2ElDF16_DF16_fEEvT1_PKT2_PKS1_PKT3_PT4_21rocsparse_index_base_
    .private_segment_fixed_size: 0
    .sgpr_count:     27
    .sgpr_spill_count: 0
    .symbol:         _ZN9rocsparseL17doti_kernel_part1ILj256ELj2ElDF16_DF16_fEEvT1_PKT2_PKS1_PKT3_PT4_21rocsparse_index_base_.kd
    .uniform_work_group_size: 1
    .uses_dynamic_stack: false
    .vgpr_count:     17
    .vgpr_spill_count: 0
    .wavefront_size: 64
  - .agpr_count:     0
    .args:
      - .offset:         0
        .size:           4
        .value_kind:     by_value
      - .address_space:  global
        .offset:         8
        .size:           8
        .value_kind:     global_buffer
      - .address_space:  global
        .offset:         16
        .size:           8
        .value_kind:     global_buffer
      - .address_space:  global
        .offset:         24
        .size:           8
        .value_kind:     global_buffer
      - .address_space:  global
        .offset:         32
        .size:           8
        .value_kind:     global_buffer
      - .offset:         40
        .size:           4
        .value_kind:     by_value
      - .offset:         48
        .size:           4
        .value_kind:     hidden_block_count_x
      - .offset:         52
        .size:           4
        .value_kind:     hidden_block_count_y
      - .offset:         56
        .size:           4
        .value_kind:     hidden_block_count_z
      - .offset:         60
        .size:           2
        .value_kind:     hidden_group_size_x
      - .offset:         62
        .size:           2
        .value_kind:     hidden_group_size_y
      - .offset:         64
        .size:           2
        .value_kind:     hidden_group_size_z
      - .offset:         66
        .size:           2
        .value_kind:     hidden_remainder_x
      - .offset:         68
        .size:           2
        .value_kind:     hidden_remainder_y
      - .offset:         70
        .size:           2
        .value_kind:     hidden_remainder_z
      - .offset:         88
        .size:           8
        .value_kind:     hidden_global_offset_x
      - .offset:         96
        .size:           8
        .value_kind:     hidden_global_offset_y
      - .offset:         104
        .size:           8
        .value_kind:     hidden_global_offset_z
      - .offset:         112
        .size:           2
        .value_kind:     hidden_grid_dims
    .group_segment_fixed_size: 1024
    .kernarg_segment_align: 8
    .kernarg_segment_size: 304
    .language:       OpenCL C
    .language_version:
      - 2
      - 0
    .max_flat_workgroup_size: 256
    .name:           _ZN9rocsparseL17doti_kernel_part1ILj256ELj2Ei18rocsparse_bfloat16S1_fEEvT1_PKT2_PKS2_PKT3_PT4_21rocsparse_index_base_
    .private_segment_fixed_size: 0
    .sgpr_count:     22
    .sgpr_spill_count: 0
    .symbol:         _ZN9rocsparseL17doti_kernel_part1ILj256ELj2Ei18rocsparse_bfloat16S1_fEEvT1_PKT2_PKS2_PKT3_PT4_21rocsparse_index_base_.kd
    .uniform_work_group_size: 1
    .uses_dynamic_stack: false
    .vgpr_count:     12
    .vgpr_spill_count: 0
    .wavefront_size: 64
  - .agpr_count:     0
    .args:
      - .offset:         0
        .size:           8
        .value_kind:     by_value
      - .address_space:  global
        .offset:         8
        .size:           8
        .value_kind:     global_buffer
      - .address_space:  global
        .offset:         16
        .size:           8
        .value_kind:     global_buffer
      - .address_space:  global
        .offset:         24
        .size:           8
        .value_kind:     global_buffer
      - .address_space:  global
        .offset:         32
        .size:           8
        .value_kind:     global_buffer
      - .offset:         40
        .size:           4
        .value_kind:     by_value
      - .offset:         48
        .size:           4
        .value_kind:     hidden_block_count_x
      - .offset:         52
        .size:           4
        .value_kind:     hidden_block_count_y
      - .offset:         56
        .size:           4
        .value_kind:     hidden_block_count_z
      - .offset:         60
        .size:           2
        .value_kind:     hidden_group_size_x
      - .offset:         62
        .size:           2
        .value_kind:     hidden_group_size_y
      - .offset:         64
        .size:           2
        .value_kind:     hidden_group_size_z
      - .offset:         66
        .size:           2
        .value_kind:     hidden_remainder_x
      - .offset:         68
        .size:           2
        .value_kind:     hidden_remainder_y
      - .offset:         70
        .size:           2
        .value_kind:     hidden_remainder_z
      - .offset:         88
        .size:           8
        .value_kind:     hidden_global_offset_x
      - .offset:         96
        .size:           8
        .value_kind:     hidden_global_offset_y
      - .offset:         104
        .size:           8
        .value_kind:     hidden_global_offset_z
      - .offset:         112
        .size:           2
        .value_kind:     hidden_grid_dims
    .group_segment_fixed_size: 1024
    .kernarg_segment_align: 8
    .kernarg_segment_size: 304
    .language:       OpenCL C
    .language_version:
      - 2
      - 0
    .max_flat_workgroup_size: 256
    .name:           _ZN9rocsparseL17doti_kernel_part1ILj256ELj2El18rocsparse_bfloat16S1_fEEvT1_PKT2_PKS2_PKT3_PT4_21rocsparse_index_base_
    .private_segment_fixed_size: 0
    .sgpr_count:     27
    .sgpr_spill_count: 0
    .symbol:         _ZN9rocsparseL17doti_kernel_part1ILj256ELj2El18rocsparse_bfloat16S1_fEEvT1_PKT2_PKS2_PKT3_PT4_21rocsparse_index_base_.kd
    .uniform_work_group_size: 1
    .uses_dynamic_stack: false
    .vgpr_count:     17
    .vgpr_spill_count: 0
    .wavefront_size: 64
  - .agpr_count:     0
    .args:
      - .offset:         0
        .size:           4
        .value_kind:     by_value
      - .address_space:  global
        .offset:         8
        .size:           8
        .value_kind:     global_buffer
      - .address_space:  global
        .offset:         16
        .size:           8
        .value_kind:     global_buffer
      - .address_space:  global
        .offset:         24
        .size:           8
        .value_kind:     global_buffer
      - .address_space:  global
        .offset:         32
        .size:           8
        .value_kind:     global_buffer
      - .offset:         40
        .size:           4
        .value_kind:     by_value
      - .offset:         48
        .size:           4
        .value_kind:     hidden_block_count_x
      - .offset:         52
        .size:           4
        .value_kind:     hidden_block_count_y
      - .offset:         56
        .size:           4
        .value_kind:     hidden_block_count_z
      - .offset:         60
        .size:           2
        .value_kind:     hidden_group_size_x
      - .offset:         62
        .size:           2
        .value_kind:     hidden_group_size_y
      - .offset:         64
        .size:           2
        .value_kind:     hidden_group_size_z
      - .offset:         66
        .size:           2
        .value_kind:     hidden_remainder_x
      - .offset:         68
        .size:           2
        .value_kind:     hidden_remainder_y
      - .offset:         70
        .size:           2
        .value_kind:     hidden_remainder_z
      - .offset:         88
        .size:           8
        .value_kind:     hidden_global_offset_x
      - .offset:         96
        .size:           8
        .value_kind:     hidden_global_offset_y
      - .offset:         104
        .size:           8
        .value_kind:     hidden_global_offset_z
      - .offset:         112
        .size:           2
        .value_kind:     hidden_grid_dims
    .group_segment_fixed_size: 1024
    .kernarg_segment_align: 8
    .kernarg_segment_size: 304
    .language:       OpenCL C
    .language_version:
      - 2
      - 0
    .max_flat_workgroup_size: 256
    .name:           _ZN9rocsparseL17doti_kernel_part1ILj256ELj2EiaafEEvT1_PKT2_PKS1_PKT3_PT4_21rocsparse_index_base_
    .private_segment_fixed_size: 0
    .sgpr_count:     22
    .sgpr_spill_count: 0
    .symbol:         _ZN9rocsparseL17doti_kernel_part1ILj256ELj2EiaafEEvT1_PKT2_PKS1_PKT3_PT4_21rocsparse_index_base_.kd
    .uniform_work_group_size: 1
    .uses_dynamic_stack: false
    .vgpr_count:     12
    .vgpr_spill_count: 0
    .wavefront_size: 64
  - .agpr_count:     0
    .args:
      - .offset:         0
        .size:           8
        .value_kind:     by_value
      - .address_space:  global
        .offset:         8
        .size:           8
        .value_kind:     global_buffer
      - .address_space:  global
        .offset:         16
        .size:           8
        .value_kind:     global_buffer
      - .address_space:  global
        .offset:         24
        .size:           8
        .value_kind:     global_buffer
      - .address_space:  global
        .offset:         32
        .size:           8
        .value_kind:     global_buffer
      - .offset:         40
        .size:           4
        .value_kind:     by_value
      - .offset:         48
        .size:           4
        .value_kind:     hidden_block_count_x
      - .offset:         52
        .size:           4
        .value_kind:     hidden_block_count_y
      - .offset:         56
        .size:           4
        .value_kind:     hidden_block_count_z
      - .offset:         60
        .size:           2
        .value_kind:     hidden_group_size_x
      - .offset:         62
        .size:           2
        .value_kind:     hidden_group_size_y
      - .offset:         64
        .size:           2
        .value_kind:     hidden_group_size_z
      - .offset:         66
        .size:           2
        .value_kind:     hidden_remainder_x
      - .offset:         68
        .size:           2
        .value_kind:     hidden_remainder_y
      - .offset:         70
        .size:           2
        .value_kind:     hidden_remainder_z
      - .offset:         88
        .size:           8
        .value_kind:     hidden_global_offset_x
      - .offset:         96
        .size:           8
        .value_kind:     hidden_global_offset_y
      - .offset:         104
        .size:           8
        .value_kind:     hidden_global_offset_z
      - .offset:         112
        .size:           2
        .value_kind:     hidden_grid_dims
    .group_segment_fixed_size: 1024
    .kernarg_segment_align: 8
    .kernarg_segment_size: 304
    .language:       OpenCL C
    .language_version:
      - 2
      - 0
    .max_flat_workgroup_size: 256
    .name:           _ZN9rocsparseL17doti_kernel_part1ILj256ELj2ElaafEEvT1_PKT2_PKS1_PKT3_PT4_21rocsparse_index_base_
    .private_segment_fixed_size: 0
    .sgpr_count:     27
    .sgpr_spill_count: 0
    .symbol:         _ZN9rocsparseL17doti_kernel_part1ILj256ELj2ElaafEEvT1_PKT2_PKS1_PKT3_PT4_21rocsparse_index_base_.kd
    .uniform_work_group_size: 1
    .uses_dynamic_stack: false
    .vgpr_count:     17
    .vgpr_spill_count: 0
    .wavefront_size: 64
amdhsa.target:   amdgcn-amd-amdhsa--gfx950
amdhsa.version:
  - 1
  - 2
...

	.end_amdgpu_metadata
